;; amdgpu-corpus repo=ROCm/rocFFT kind=compiled arch=gfx906 opt=O3
	.text
	.amdgcn_target "amdgcn-amd-amdhsa--gfx906"
	.amdhsa_code_object_version 6
	.protected	fft_rtc_back_len1666_factors_17_2_7_7_wgs_119_tpt_119_halfLds_sp_op_CI_CI_unitstride_sbrr_C2R_dirReg ; -- Begin function fft_rtc_back_len1666_factors_17_2_7_7_wgs_119_tpt_119_halfLds_sp_op_CI_CI_unitstride_sbrr_C2R_dirReg
	.globl	fft_rtc_back_len1666_factors_17_2_7_7_wgs_119_tpt_119_halfLds_sp_op_CI_CI_unitstride_sbrr_C2R_dirReg
	.p2align	8
	.type	fft_rtc_back_len1666_factors_17_2_7_7_wgs_119_tpt_119_halfLds_sp_op_CI_CI_unitstride_sbrr_C2R_dirReg,@function
fft_rtc_back_len1666_factors_17_2_7_7_wgs_119_tpt_119_halfLds_sp_op_CI_CI_unitstride_sbrr_C2R_dirReg: ; @fft_rtc_back_len1666_factors_17_2_7_7_wgs_119_tpt_119_halfLds_sp_op_CI_CI_unitstride_sbrr_C2R_dirReg
; %bb.0:
	s_load_dwordx4 s[8:11], s[4:5], 0x58
	s_load_dwordx4 s[12:15], s[4:5], 0x0
	;; [unrolled: 1-line block ×3, first 2 shown]
	v_mul_u32_u24_e32 v1, 0x227, v0
	v_add_u32_sdwa v5, s6, v1 dst_sel:DWORD dst_unused:UNUSED_PAD src0_sel:DWORD src1_sel:WORD_1
	v_mov_b32_e32 v3, 0
	s_waitcnt lgkmcnt(0)
	v_cmp_lt_u64_e64 s[0:1], s[14:15], 2
	v_mov_b32_e32 v1, 0
	v_mov_b32_e32 v6, v3
	s_and_b64 vcc, exec, s[0:1]
	v_mov_b32_e32 v2, 0
	s_cbranch_vccnz .LBB0_8
; %bb.1:
	s_load_dwordx2 s[0:1], s[4:5], 0x10
	s_add_u32 s2, s18, 8
	s_addc_u32 s3, s19, 0
	s_add_u32 s6, s16, 8
	v_mov_b32_e32 v1, 0
	s_addc_u32 s7, s17, 0
	v_mov_b32_e32 v2, 0
	s_waitcnt lgkmcnt(0)
	s_add_u32 s20, s0, 8
	v_mov_b32_e32 v33, v2
	s_addc_u32 s21, s1, 0
	s_mov_b64 s[22:23], 1
	v_mov_b32_e32 v32, v1
.LBB0_2:                                ; =>This Inner Loop Header: Depth=1
	s_load_dwordx2 s[24:25], s[20:21], 0x0
                                        ; implicit-def: $vgpr34_vgpr35
	s_waitcnt lgkmcnt(0)
	v_or_b32_e32 v4, s25, v6
	v_cmp_ne_u64_e32 vcc, 0, v[3:4]
	s_and_saveexec_b64 s[0:1], vcc
	s_xor_b64 s[26:27], exec, s[0:1]
	s_cbranch_execz .LBB0_4
; %bb.3:                                ;   in Loop: Header=BB0_2 Depth=1
	v_cvt_f32_u32_e32 v4, s24
	v_cvt_f32_u32_e32 v7, s25
	s_sub_u32 s0, 0, s24
	s_subb_u32 s1, 0, s25
	v_mac_f32_e32 v4, 0x4f800000, v7
	v_rcp_f32_e32 v4, v4
	v_mul_f32_e32 v4, 0x5f7ffffc, v4
	v_mul_f32_e32 v7, 0x2f800000, v4
	v_trunc_f32_e32 v7, v7
	v_mac_f32_e32 v4, 0xcf800000, v7
	v_cvt_u32_f32_e32 v7, v7
	v_cvt_u32_f32_e32 v4, v4
	v_mul_lo_u32 v8, s0, v7
	v_mul_hi_u32 v9, s0, v4
	v_mul_lo_u32 v11, s1, v4
	v_mul_lo_u32 v10, s0, v4
	v_add_u32_e32 v8, v9, v8
	v_add_u32_e32 v8, v8, v11
	v_mul_hi_u32 v9, v4, v10
	v_mul_lo_u32 v11, v4, v8
	v_mul_hi_u32 v13, v4, v8
	v_mul_hi_u32 v12, v7, v10
	v_mul_lo_u32 v10, v7, v10
	v_mul_hi_u32 v14, v7, v8
	v_add_co_u32_e32 v9, vcc, v9, v11
	v_addc_co_u32_e32 v11, vcc, 0, v13, vcc
	v_mul_lo_u32 v8, v7, v8
	v_add_co_u32_e32 v9, vcc, v9, v10
	v_addc_co_u32_e32 v9, vcc, v11, v12, vcc
	v_addc_co_u32_e32 v10, vcc, 0, v14, vcc
	v_add_co_u32_e32 v8, vcc, v9, v8
	v_addc_co_u32_e32 v9, vcc, 0, v10, vcc
	v_add_co_u32_e32 v4, vcc, v4, v8
	v_addc_co_u32_e32 v7, vcc, v7, v9, vcc
	v_mul_lo_u32 v8, s0, v7
	v_mul_hi_u32 v9, s0, v4
	v_mul_lo_u32 v10, s1, v4
	v_mul_lo_u32 v11, s0, v4
	v_add_u32_e32 v8, v9, v8
	v_add_u32_e32 v8, v8, v10
	v_mul_lo_u32 v12, v4, v8
	v_mul_hi_u32 v13, v4, v11
	v_mul_hi_u32 v14, v4, v8
	v_mul_hi_u32 v10, v7, v11
	v_mul_lo_u32 v11, v7, v11
	v_mul_hi_u32 v9, v7, v8
	v_add_co_u32_e32 v12, vcc, v13, v12
	v_addc_co_u32_e32 v13, vcc, 0, v14, vcc
	v_mul_lo_u32 v8, v7, v8
	v_add_co_u32_e32 v11, vcc, v12, v11
	v_addc_co_u32_e32 v10, vcc, v13, v10, vcc
	v_addc_co_u32_e32 v9, vcc, 0, v9, vcc
	v_add_co_u32_e32 v8, vcc, v10, v8
	v_addc_co_u32_e32 v9, vcc, 0, v9, vcc
	v_add_co_u32_e32 v4, vcc, v4, v8
	v_addc_co_u32_e32 v9, vcc, v7, v9, vcc
	v_mad_u64_u32 v[7:8], s[0:1], v5, v9, 0
	v_mul_hi_u32 v10, v5, v4
	v_add_co_u32_e32 v11, vcc, v10, v7
	v_addc_co_u32_e32 v12, vcc, 0, v8, vcc
	v_mad_u64_u32 v[7:8], s[0:1], v6, v4, 0
	v_mad_u64_u32 v[9:10], s[0:1], v6, v9, 0
	v_add_co_u32_e32 v4, vcc, v11, v7
	v_addc_co_u32_e32 v4, vcc, v12, v8, vcc
	v_addc_co_u32_e32 v7, vcc, 0, v10, vcc
	v_add_co_u32_e32 v4, vcc, v4, v9
	v_addc_co_u32_e32 v9, vcc, 0, v7, vcc
	v_mul_lo_u32 v10, s25, v4
	v_mul_lo_u32 v11, s24, v9
	v_mad_u64_u32 v[7:8], s[0:1], s24, v4, 0
	v_add3_u32 v8, v8, v11, v10
	v_sub_u32_e32 v10, v6, v8
	v_mov_b32_e32 v11, s25
	v_sub_co_u32_e32 v7, vcc, v5, v7
	v_subb_co_u32_e64 v10, s[0:1], v10, v11, vcc
	v_subrev_co_u32_e64 v11, s[0:1], s24, v7
	v_subbrev_co_u32_e64 v10, s[0:1], 0, v10, s[0:1]
	v_cmp_le_u32_e64 s[0:1], s25, v10
	v_cndmask_b32_e64 v12, 0, -1, s[0:1]
	v_cmp_le_u32_e64 s[0:1], s24, v11
	v_cndmask_b32_e64 v11, 0, -1, s[0:1]
	v_cmp_eq_u32_e64 s[0:1], s25, v10
	v_cndmask_b32_e64 v10, v12, v11, s[0:1]
	v_add_co_u32_e64 v11, s[0:1], 2, v4
	v_addc_co_u32_e64 v12, s[0:1], 0, v9, s[0:1]
	v_add_co_u32_e64 v13, s[0:1], 1, v4
	v_addc_co_u32_e64 v14, s[0:1], 0, v9, s[0:1]
	v_subb_co_u32_e32 v8, vcc, v6, v8, vcc
	v_cmp_ne_u32_e64 s[0:1], 0, v10
	v_cmp_le_u32_e32 vcc, s25, v8
	v_cndmask_b32_e64 v10, v14, v12, s[0:1]
	v_cndmask_b32_e64 v12, 0, -1, vcc
	v_cmp_le_u32_e32 vcc, s24, v7
	v_cndmask_b32_e64 v7, 0, -1, vcc
	v_cmp_eq_u32_e32 vcc, s25, v8
	v_cndmask_b32_e32 v7, v12, v7, vcc
	v_cmp_ne_u32_e32 vcc, 0, v7
	v_cndmask_b32_e64 v7, v13, v11, s[0:1]
	v_cndmask_b32_e32 v35, v9, v10, vcc
	v_cndmask_b32_e32 v34, v4, v7, vcc
.LBB0_4:                                ;   in Loop: Header=BB0_2 Depth=1
	s_andn2_saveexec_b64 s[0:1], s[26:27]
	s_cbranch_execz .LBB0_6
; %bb.5:                                ;   in Loop: Header=BB0_2 Depth=1
	v_cvt_f32_u32_e32 v4, s24
	s_sub_i32 s26, 0, s24
	v_mov_b32_e32 v35, v3
	v_rcp_iflag_f32_e32 v4, v4
	v_mul_f32_e32 v4, 0x4f7ffffe, v4
	v_cvt_u32_f32_e32 v4, v4
	v_mul_lo_u32 v7, s26, v4
	v_mul_hi_u32 v7, v4, v7
	v_add_u32_e32 v4, v4, v7
	v_mul_hi_u32 v4, v5, v4
	v_mul_lo_u32 v7, v4, s24
	v_add_u32_e32 v8, 1, v4
	v_sub_u32_e32 v7, v5, v7
	v_subrev_u32_e32 v9, s24, v7
	v_cmp_le_u32_e32 vcc, s24, v7
	v_cndmask_b32_e32 v7, v7, v9, vcc
	v_cndmask_b32_e32 v4, v4, v8, vcc
	v_add_u32_e32 v8, 1, v4
	v_cmp_le_u32_e32 vcc, s24, v7
	v_cndmask_b32_e32 v34, v4, v8, vcc
.LBB0_6:                                ;   in Loop: Header=BB0_2 Depth=1
	s_or_b64 exec, exec, s[0:1]
	v_mul_lo_u32 v4, v35, s24
	v_mul_lo_u32 v9, v34, s25
	v_mad_u64_u32 v[7:8], s[0:1], v34, s24, 0
	s_load_dwordx2 s[0:1], s[6:7], 0x0
	s_load_dwordx2 s[24:25], s[2:3], 0x0
	v_add3_u32 v4, v8, v9, v4
	v_sub_co_u32_e32 v5, vcc, v5, v7
	v_subb_co_u32_e32 v4, vcc, v6, v4, vcc
	s_waitcnt lgkmcnt(0)
	v_mul_lo_u32 v6, s0, v4
	v_mul_lo_u32 v7, s1, v5
	v_mad_u64_u32 v[1:2], s[0:1], s0, v5, v[1:2]
	v_mul_lo_u32 v4, s24, v4
	v_mul_lo_u32 v8, s25, v5
	v_mad_u64_u32 v[32:33], s[0:1], s24, v5, v[32:33]
	s_add_u32 s22, s22, 1
	s_addc_u32 s23, s23, 0
	s_add_u32 s2, s2, 8
	v_add3_u32 v33, v8, v33, v4
	s_addc_u32 s3, s3, 0
	v_mov_b32_e32 v4, s14
	s_add_u32 s6, s6, 8
	v_mov_b32_e32 v5, s15
	s_addc_u32 s7, s7, 0
	v_cmp_ge_u64_e32 vcc, s[22:23], v[4:5]
	s_add_u32 s20, s20, 8
	v_add3_u32 v2, v7, v2, v6
	s_addc_u32 s21, s21, 0
	s_cbranch_vccnz .LBB0_9
; %bb.7:                                ;   in Loop: Header=BB0_2 Depth=1
	v_mov_b32_e32 v5, v34
	v_mov_b32_e32 v6, v35
	s_branch .LBB0_2
.LBB0_8:
	v_mov_b32_e32 v33, v2
	v_mov_b32_e32 v35, v6
	;; [unrolled: 1-line block ×4, first 2 shown]
.LBB0_9:
	s_load_dwordx2 s[4:5], s[4:5], 0x28
	s_lshl_b64 s[6:7], s[14:15], 3
	s_add_u32 s2, s18, s6
	s_addc_u32 s3, s19, s7
                                        ; implicit-def: $vgpr36
	s_waitcnt lgkmcnt(0)
	v_cmp_gt_u64_e64 s[0:1], s[4:5], v[34:35]
	v_cmp_le_u64_e32 vcc, s[4:5], v[34:35]
	s_and_saveexec_b64 s[4:5], vcc
	s_xor_b64 s[4:5], exec, s[4:5]
; %bb.10:
	s_mov_b32 s14, 0x226b903
	v_mul_hi_u32 v1, v0, s14
	v_mul_u32_u24_e32 v1, 0x77, v1
	v_sub_u32_e32 v36, v0, v1
                                        ; implicit-def: $vgpr0
                                        ; implicit-def: $vgpr1_vgpr2
; %bb.11:
	s_or_saveexec_b64 s[4:5], s[4:5]
	s_load_dwordx2 s[2:3], s[2:3], 0x0
	s_xor_b64 exec, exec, s[4:5]
	s_cbranch_execz .LBB0_15
; %bb.12:
	s_add_u32 s6, s16, s6
	s_addc_u32 s7, s17, s7
	s_load_dwordx2 s[6:7], s[6:7], 0x0
	s_mov_b32 s14, 0x226b903
	v_mul_hi_u32 v5, v0, s14
	v_lshlrev_b64 v[1:2], 3, v[1:2]
	s_waitcnt lgkmcnt(0)
	v_mul_lo_u32 v6, s7, v34
	v_mul_lo_u32 v7, s6, v35
	v_mad_u64_u32 v[3:4], s[6:7], s6, v34, 0
	v_mul_u32_u24_e32 v5, 0x77, v5
	v_sub_u32_e32 v36, v0, v5
	v_add3_u32 v4, v4, v7, v6
	v_lshlrev_b64 v[3:4], 3, v[3:4]
	v_mov_b32_e32 v0, s9
	v_add_co_u32_e32 v3, vcc, s8, v3
	v_addc_co_u32_e32 v0, vcc, v0, v4, vcc
	v_add_co_u32_e32 v1, vcc, v3, v1
	v_addc_co_u32_e32 v0, vcc, v0, v2, vcc
	v_lshlrev_b32_e32 v41, 3, v36
	v_add_co_u32_e32 v2, vcc, v1, v41
	v_addc_co_u32_e32 v3, vcc, 0, v0, vcc
	s_movk_i32 s6, 0x1000
	v_add_co_u32_e32 v6, vcc, s6, v2
	v_addc_co_u32_e32 v7, vcc, 0, v3, vcc
	s_movk_i32 s6, 0x2000
	v_add_co_u32_e32 v14, vcc, s6, v2
	v_addc_co_u32_e32 v15, vcc, 0, v3, vcc
	global_load_dwordx2 v[4:5], v[2:3], off offset:2856
	global_load_dwordx2 v[8:9], v[2:3], off
	global_load_dwordx2 v[10:11], v[2:3], off offset:1904
	global_load_dwordx2 v[12:13], v[2:3], off offset:952
	;; [unrolled: 1-line block ×6, first 2 shown]
	v_add_co_u32_e32 v2, vcc, 0x3000, v2
	v_addc_co_u32_e32 v3, vcc, 0, v3, vcc
	global_load_dwordx2 v[24:25], v[6:7], off offset:3520
	global_load_dwordx2 v[26:27], v[14:15], off offset:376
	;; [unrolled: 1-line block ×6, first 2 shown]
	s_movk_i32 s6, 0x76
	v_add_u32_e32 v2, 0, v41
	v_add_u32_e32 v3, 0x400, v2
	v_cmp_eq_u32_e32 vcc, s6, v36
	v_add_u32_e32 v6, 0xc00, v2
	v_add_u32_e32 v7, 0x1400, v2
	;; [unrolled: 1-line block ×5, first 2 shown]
	s_waitcnt vmcnt(11)
	ds_write2_b64 v3, v[10:11], v[4:5] offset0:110 offset1:229
	s_waitcnt vmcnt(10)
	ds_write2_b64 v2, v[8:9], v[12:13] offset1:119
	s_waitcnt vmcnt(8)
	ds_write2_b64 v6, v[16:17], v[18:19] offset0:92 offset1:211
	s_waitcnt vmcnt(6)
	ds_write2_b64 v7, v[20:21], v[22:23] offset0:74 offset1:193
	;; [unrolled: 2-line block ×5, first 2 shown]
	s_and_saveexec_b64 s[6:7], vcc
	s_cbranch_execz .LBB0_14
; %bb.13:
	v_add_co_u32_e32 v1, vcc, 0x3000, v1
	v_addc_co_u32_e32 v2, vcc, 0, v0, vcc
	global_load_dwordx2 v[0:1], v[1:2], off offset:1040
	v_mov_b32_e32 v2, 0
	v_mov_b32_e32 v36, 0x76
	s_waitcnt vmcnt(0)
	ds_write_b64 v2, v[0:1] offset:13328
.LBB0_14:
	s_or_b64 exec, exec, s[6:7]
.LBB0_15:
	s_or_b64 exec, exec, s[4:5]
	v_lshlrev_b32_e32 v0, 3, v36
	v_add_u32_e32 v39, 0, v0
	s_waitcnt lgkmcnt(0)
	s_barrier
	v_sub_u32_e32 v4, 0, v0
	ds_read_b32 v5, v39
	ds_read_b32 v6, v4 offset:13328
	s_add_u32 s6, s12, 0x3388
	s_addc_u32 s7, s13, 0
	v_cmp_ne_u32_e32 vcc, 0, v36
                                        ; implicit-def: $vgpr2_vgpr3
	s_waitcnt lgkmcnt(0)
	v_add_f32_e32 v0, v6, v5
	v_sub_f32_e32 v1, v5, v6
	s_and_saveexec_b64 s[4:5], vcc
	s_xor_b64 s[4:5], exec, s[4:5]
	s_cbranch_execz .LBB0_17
; %bb.16:
	v_mov_b32_e32 v37, 0
	v_lshlrev_b64 v[0:1], 3, v[36:37]
	v_mov_b32_e32 v2, s7
	v_add_co_u32_e32 v0, vcc, s6, v0
	v_addc_co_u32_e32 v1, vcc, v2, v1, vcc
	global_load_dwordx2 v[2:3], v[0:1], off
	ds_read_b32 v0, v4 offset:13332
	ds_read_b32 v1, v39 offset:4
	v_add_f32_e32 v7, v6, v5
	v_sub_f32_e32 v8, v5, v6
	s_waitcnt lgkmcnt(0)
	v_add_f32_e32 v9, v0, v1
	v_sub_f32_e32 v0, v1, v0
	s_waitcnt vmcnt(0)
	v_fma_f32 v10, v8, v3, v7
	v_fma_f32 v1, v9, v3, v0
	v_fma_f32 v5, -v8, v3, v7
	v_fma_f32 v6, v9, v3, -v0
	v_fma_f32 v0, -v2, v9, v10
	v_fmac_f32_e32 v1, v8, v2
	v_fmac_f32_e32 v5, v2, v9
	;; [unrolled: 1-line block ×3, first 2 shown]
	v_mov_b32_e32 v2, v36
	ds_write_b64 v4, v[5:6] offset:13328
	v_mov_b32_e32 v3, v37
.LBB0_17:
	s_andn2_saveexec_b64 s[4:5], s[4:5]
	s_cbranch_execz .LBB0_19
; %bb.18:
	v_mov_b32_e32 v7, 0
	ds_read_b64 v[2:3], v7 offset:6664
	s_waitcnt lgkmcnt(0)
	v_add_f32_e32 v5, v2, v2
	v_mul_f32_e32 v6, -2.0, v3
	v_mov_b32_e32 v2, 0
	v_mov_b32_e32 v3, 0
	ds_write_b64 v7, v[5:6] offset:6664
.LBB0_19:
	s_or_b64 exec, exec, s[4:5]
	v_lshlrev_b64 v[2:3], 3, v[2:3]
	v_mov_b32_e32 v5, s7
	v_add_co_u32_e32 v2, vcc, s6, v2
	v_addc_co_u32_e32 v3, vcc, v5, v3, vcc
	global_load_dwordx2 v[5:6], v[2:3], off offset:952
	global_load_dwordx2 v[7:8], v[2:3], off offset:1904
	;; [unrolled: 1-line block ×4, first 2 shown]
	s_movk_i32 s6, 0x1000
	v_add_co_u32_e32 v2, vcc, s6, v2
	ds_write_b64 v39, v[0:1]
	v_addc_co_u32_e32 v3, vcc, 0, v3, vcc
	ds_read_b64 v[0:1], v39 offset:952
	ds_read_b64 v[13:14], v4 offset:12376
	global_load_dwordx2 v[15:16], v[2:3], off offset:664
	v_add_u32_e32 v40, 0x400, v39
	v_add_u32_e32 v41, 0x1c00, v39
	;; [unrolled: 1-line block ×3, first 2 shown]
	s_waitcnt lgkmcnt(0)
	v_add_f32_e32 v17, v0, v13
	v_add_f32_e32 v18, v14, v1
	v_sub_f32_e32 v19, v0, v13
	v_sub_f32_e32 v0, v1, v14
	s_movk_i32 s4, 0x62
	v_cmp_gt_u32_e32 vcc, s4, v36
	s_waitcnt vmcnt(4)
	v_fma_f32 v20, v19, v6, v17
	v_fma_f32 v1, v18, v6, v0
	v_fma_f32 v13, -v19, v6, v17
	v_fma_f32 v14, v18, v6, -v0
	v_fma_f32 v0, -v5, v18, v20
	v_fmac_f32_e32 v1, v19, v5
	v_fmac_f32_e32 v13, v5, v18
	;; [unrolled: 1-line block ×3, first 2 shown]
	ds_write_b64 v39, v[0:1] offset:952
	ds_write_b64 v4, v[13:14] offset:12376
	ds_read_b64 v[0:1], v39 offset:1904
	ds_read_b64 v[5:6], v4 offset:11424
	global_load_dwordx2 v[2:3], v[2:3], off offset:1616
	s_waitcnt lgkmcnt(0)
	v_add_f32_e32 v13, v0, v5
	v_add_f32_e32 v14, v6, v1
	v_sub_f32_e32 v17, v0, v5
	v_sub_f32_e32 v0, v1, v6
	s_waitcnt vmcnt(4)
	v_fma_f32 v18, v17, v8, v13
	v_fma_f32 v1, v14, v8, v0
	v_fma_f32 v5, -v17, v8, v13
	v_fma_f32 v6, v14, v8, -v0
	v_fma_f32 v0, -v7, v14, v18
	v_fmac_f32_e32 v1, v17, v7
	v_fmac_f32_e32 v5, v7, v14
	v_fmac_f32_e32 v6, v17, v7
	ds_write_b64 v39, v[0:1] offset:1904
	ds_write_b64 v4, v[5:6] offset:11424
	ds_read_b64 v[0:1], v39 offset:2856
	ds_read_b64 v[5:6], v4 offset:10472
	s_waitcnt lgkmcnt(0)
	v_add_f32_e32 v7, v0, v5
	v_add_f32_e32 v8, v6, v1
	v_sub_f32_e32 v13, v0, v5
	v_sub_f32_e32 v0, v1, v6
	s_waitcnt vmcnt(3)
	v_fma_f32 v14, v13, v10, v7
	v_fma_f32 v1, v8, v10, v0
	v_fma_f32 v5, -v13, v10, v7
	v_fma_f32 v6, v8, v10, -v0
	v_fma_f32 v0, -v9, v8, v14
	v_fmac_f32_e32 v1, v13, v9
	v_fmac_f32_e32 v5, v9, v8
	v_fmac_f32_e32 v6, v13, v9
	ds_write_b64 v39, v[0:1] offset:2856
	ds_write_b64 v4, v[5:6] offset:10472
	ds_read_b64 v[0:1], v39 offset:3808
	ds_read_b64 v[5:6], v4 offset:9520
	;; [unrolled: 18-line block ×3, first 2 shown]
	v_add_u32_e32 v8, 0x800, v39
	s_waitcnt lgkmcnt(0)
	v_add_f32_e32 v7, v0, v5
	v_add_f32_e32 v9, v6, v1
	v_sub_f32_e32 v10, v0, v5
	v_sub_f32_e32 v0, v1, v6
	s_waitcnt vmcnt(1)
	v_fma_f32 v11, v10, v16, v7
	v_fma_f32 v1, v9, v16, v0
	v_fma_f32 v5, -v10, v16, v7
	v_fma_f32 v6, v9, v16, -v0
	v_fma_f32 v0, -v15, v9, v11
	v_fmac_f32_e32 v1, v10, v15
	v_fmac_f32_e32 v5, v15, v9
	;; [unrolled: 1-line block ×3, first 2 shown]
	ds_write_b64 v39, v[0:1] offset:4760
	ds_write_b64 v4, v[5:6] offset:8568
	ds_read_b64 v[0:1], v39 offset:5712
	ds_read_b64 v[5:6], v4 offset:7616
	v_add_u32_e32 v9, 0x1000, v39
	v_add_u32_e32 v10, 0x1800, v39
	;; [unrolled: 1-line block ×3, first 2 shown]
	s_waitcnt lgkmcnt(0)
	v_add_f32_e32 v7, v0, v5
	v_add_f32_e32 v12, v6, v1
	v_sub_f32_e32 v13, v0, v5
	v_sub_f32_e32 v0, v1, v6
	s_waitcnt vmcnt(0)
	v_fma_f32 v14, v13, v3, v7
	v_fma_f32 v1, v12, v3, v0
	v_fma_f32 v5, -v13, v3, v7
	v_fma_f32 v6, v12, v3, -v0
	v_fma_f32 v0, -v2, v12, v14
	v_fmac_f32_e32 v1, v13, v2
	v_fmac_f32_e32 v5, v2, v12
	;; [unrolled: 1-line block ×3, first 2 shown]
	ds_write_b64 v39, v[0:1] offset:5712
	ds_write_b64 v4, v[5:6] offset:7616
	s_waitcnt lgkmcnt(0)
	s_barrier
	s_barrier
	ds_read2_b64 v[4:7], v39 offset1:98
	ds_read2_b64 v[20:23], v8 offset0:136 offset1:234
	ds_read2_b64 v[24:27], v9 offset0:76 offset1:174
	;; [unrolled: 1-line block ×4, first 2 shown]
	ds_read_b64 v[37:38], v39 offset:12544
	ds_read2_b64 v[16:19], v40 offset0:68 offset1:166
	ds_read2_b64 v[28:31], v41 offset0:84 offset1:182
	;; [unrolled: 1-line block ×3, first 2 shown]
	s_waitcnt lgkmcnt(0)
	s_barrier
	s_and_saveexec_b64 s[4:5], vcc
	s_cbranch_execz .LBB0_21
; %bb.20:
	v_add_f32_e32 v48, v5, v7
	v_add_f32_e32 v48, v48, v17
	;; [unrolled: 1-line block ×12, first 2 shown]
	v_sub_f32_e32 v43, v24, v30
	v_add_f32_e32 v45, v30, v24
	v_add_f32_e32 v24, v48, v24
	v_sub_f32_e32 v44, v26, v28
	v_add_f32_e32 v50, v24, v26
	v_add_f32_e32 v24, v28, v26
	;; [unrolled: 1-line block ×6, first 2 shown]
	v_sub_f32_e32 v48, v25, v31
	v_add_f32_e32 v31, v26, v31
	v_add_f32_e32 v26, v50, v0
	;; [unrolled: 1-line block ×6, first 2 shown]
	v_sub_f32_e32 v27, v27, v29
	v_add_f32_e32 v30, v15, v21
	v_sub_f32_e32 v26, v22, v12
	v_add_f32_e32 v29, v13, v23
	;; [unrolled: 2-line block ×4, first 2 shown]
	v_add_f32_e32 v12, v49, v12
	v_add_f32_e32 v50, v13, v15
	;; [unrolled: 1-line block ×3, first 2 shown]
	v_sub_f32_e32 v25, v20, v14
	v_add_f32_e32 v20, v14, v20
	v_sub_f32_e32 v22, v16, v10
	v_add_f32_e32 v49, v11, v17
	;; [unrolled: 2-line block ×3, first 2 shown]
	v_add_f32_e32 v12, v10, v16
	v_sub_f32_e32 v16, v17, v11
	v_add_f32_e32 v13, v8, v18
	v_sub_f32_e32 v15, v19, v9
	v_sub_f32_e32 v17, v6, v37
	v_add_f32_e32 v9, v50, v9
	v_add_f32_e32 v8, v51, v8
	;; [unrolled: 1-line block ×4, first 2 shown]
	v_mul_f32_e32 v8, 0xbf4c4adb, v17
	v_mul_f32_e32 v11, 0xbe3c28d5, v17
	v_add_f32_e32 v9, v38, v7
	s_mov_b32 s8, 0xbf1a4643
	v_mov_b32_e32 v10, v8
	s_mov_b32 s7, 0xbf7ba420
	v_mov_b32_e32 v18, v11
	v_fmac_f32_e32 v10, 0xbf1a4643, v9
	v_fmac_f32_e32 v18, 0xbf7ba420, v9
	v_fma_f32 v11, v9, s7, -v11
	v_mul_f32_e32 v19, 0xbf59a7d5, v9
	v_fma_f32 v8, v9, s8, -v8
	v_mul_f32_e32 v51, 0xbe8c1d8e, v9
	v_mul_f32_e32 v58, 0x3dbcf732, v9
	;; [unrolled: 1-line block ×5, first 2 shown]
	v_sub_f32_e32 v7, v7, v38
	v_mov_b32_e32 v50, v19
	v_mov_b32_e32 v52, v51
	;; [unrolled: 1-line block ×6, first 2 shown]
	s_mov_b32 s14, 0xbe8c1d8e
	s_mov_b32 s15, 0x3dbcf732
	v_add_f32_e32 v6, v37, v6
	v_mul_f32_e32 v67, 0xbf763a35, v7
	v_mul_f32_e32 v69, 0xbf7ee86f, v7
	v_fmac_f32_e32 v50, 0x3f06c442, v17
	v_fmac_f32_e32 v52, 0x3f763a35, v17
	;; [unrolled: 1-line block ×12, first 2 shown]
	v_mul_f32_e32 v17, 0xbe3c28d5, v7
	v_mul_f32_e32 v63, 0xbf06c442, v7
	;; [unrolled: 1-line block ×3, first 2 shown]
	v_mov_b32_e32 v68, v67
	v_mov_b32_e32 v70, v69
	v_mul_f32_e32 v71, 0xbf65296c, v7
	v_mul_f32_e32 v73, 0xbf2c7751, v7
	;; [unrolled: 1-line block ×3, first 2 shown]
	v_fma_f32 v67, v6, s14, -v67
	v_fma_f32 v69, v6, s15, -v69
	s_mov_b32 s18, 0x3f6eb680
	s_mov_b32 s9, 0xbf59a7d5
	;; [unrolled: 1-line block ×4, first 2 shown]
	v_mov_b32_e32 v64, v63
	v_mov_b32_e32 v72, v71
	v_mov_b32_e32 v74, v73
	v_mov_b32_e32 v75, v7
	v_add_f32_e32 v82, v5, v53
	v_add_f32_e32 v83, v5, v54
	;; [unrolled: 1-line block ×6, first 2 shown]
	v_sub_f32_e32 v69, v1, v3
	v_add_f32_e32 v1, v56, v38
	v_mul_f32_e32 v56, 0x3f763a35, v22
	v_fma_f32 v62, v6, s7, -v17
	v_fmac_f32_e32 v17, 0xbf7ba420, v6
	v_fmac_f32_e32 v64, 0xbf59a7d5, v6
	v_fma_f32 v66, v6, s8, -v65
	v_fmac_f32_e32 v65, 0xbf1a4643, v6
	v_fmac_f32_e32 v68, 0xbe8c1d8e, v6
	;; [unrolled: 1-line block ×6, first 2 shown]
	v_fma_f32 v63, v6, s9, -v63
	v_fma_f32 v71, v6, s16, -v71
	;; [unrolled: 1-line block ×4, first 2 shown]
	v_add_f32_e32 v7, v5, v10
	v_add_f32_e32 v80, v5, v8
	v_sub_f32_e32 v10, v0, v2
	v_add_f32_e32 v8, v2, v0
	v_add_f32_e32 v0, v57, v37
	v_mov_b32_e32 v2, v56
	v_mul_f32_e32 v57, 0xbeb8f4ab, v14
	v_fmac_f32_e32 v2, 0xbe8c1d8e, v49
	v_mov_b32_e32 v3, v57
	v_add_f32_e32 v81, v5, v52
	v_add_f32_e32 v52, v5, v58
	v_add_f32_e32 v2, v2, v7
	v_fmac_f32_e32 v3, 0x3f6eb680, v31
	v_mul_f32_e32 v58, 0xbf06c442, v25
	v_add_f32_e32 v2, v3, v2
	v_mov_b32_e32 v3, v58
	v_add_f32_e32 v79, v5, v50
	v_add_f32_e32 v50, v5, v59
	v_fmac_f32_e32 v3, 0xbf59a7d5, v30
	v_mul_f32_e32 v59, 0x3f7ee86f, v26
	v_add_f32_e32 v2, v3, v2
	v_mov_b32_e32 v3, v59
	v_add_f32_e32 v76, v5, v18
	v_add_f32_e32 v18, v5, v60
	v_fmac_f32_e32 v3, 0x3dbcf732, v29
	v_mul_f32_e32 v60, 0xbf2c7751, v43
	v_add_f32_e32 v2, v3, v2
	v_mov_b32_e32 v3, v60
	v_add_f32_e32 v85, v5, v61
	v_fmac_f32_e32 v3, 0x3f3d2fb0, v46
	v_mul_f32_e32 v61, 0xbe3c28d5, v44
	v_add_f32_e32 v2, v3, v2
	v_mov_b32_e32 v3, v61
	v_add_f32_e32 v84, v5, v55
	v_add_f32_e32 v55, v4, v63
	v_fmac_f32_e32 v3, 0xbf7ba420, v47
	v_mul_f32_e32 v63, 0x3f763a35, v16
	v_add_f32_e32 v66, v4, v66
	v_add_f32_e32 v2, v3, v2
	v_fma_f32 v3, v12, s14, -v63
	v_add_f32_e32 v3, v3, v66
	v_mul_f32_e32 v66, 0xbeb8f4ab, v15
	v_add_f32_e32 v62, v4, v62
	v_add_f32_e32 v77, v5, v11
	;; [unrolled: 1-line block ×15, first 2 shown]
	v_fma_f32 v4, v13, s18, -v66
	v_mul_f32_e32 v71, 0xbf06c442, v28
	v_add_f32_e32 v3, v4, v3
	v_fma_f32 v4, v20, s9, -v71
	v_mul_f32_e32 v73, 0x3f7ee86f, v23
	v_add_f32_e32 v3, v4, v3
	;; [unrolled: 3-line block ×3, first 2 shown]
	v_fma_f32 v4, v45, s17, -v87
	v_mul_f32_e32 v88, 0xbe3c28d5, v27
	v_fma_f32 v56, v49, s14, -v56
	v_add_f32_e32 v3, v4, v3
	v_fma_f32 v4, v24, s7, -v88
	v_mul_f32_e32 v89, 0x3f65296c, v10
	v_add_f32_e32 v56, v56, v80
	v_fma_f32 v57, v31, s18, -v57
	v_add_f32_e32 v4, v4, v3
	v_mov_b32_e32 v3, v89
	v_add_f32_e32 v56, v57, v56
	v_fma_f32 v57, v30, s9, -v58
	v_fmac_f32_e32 v3, 0x3ee437d1, v67
	v_mul_f32_e32 v90, 0x3f65296c, v69
	v_add_f32_e32 v56, v57, v56
	v_fma_f32 v57, v29, s15, -v59
	v_add_f32_e32 v3, v3, v2
	v_fma_f32 v2, v8, s16, -v90
	v_mul_f32_e32 v6, 0x3eb8f4ab, v22
	v_add_f32_e32 v56, v57, v56
	v_fma_f32 v57, v46, s17, -v60
	v_add_f32_e32 v2, v2, v4
	v_mov_b32_e32 v4, v6
	v_mul_f32_e32 v7, 0xbf06c442, v14
	v_add_f32_e32 v56, v57, v56
	v_fma_f32 v57, v47, s7, -v61
	v_fmac_f32_e32 v63, 0xbe8c1d8e, v12
	v_fmac_f32_e32 v4, 0x3f6eb680, v49
	v_mov_b32_e32 v5, v7
	v_add_f32_e32 v56, v57, v56
	v_add_f32_e32 v57, v63, v65
	v_fmac_f32_e32 v66, 0x3f6eb680, v13
	v_add_f32_e32 v4, v4, v76
	v_fmac_f32_e32 v5, 0xbf59a7d5, v31
	v_mul_f32_e32 v37, 0x3f2c7751, v25
	v_add_f32_e32 v57, v66, v57
	v_fmac_f32_e32 v71, 0xbf59a7d5, v20
	v_add_f32_e32 v4, v5, v4
	v_mov_b32_e32 v5, v37
	v_add_f32_e32 v57, v71, v57
	v_fmac_f32_e32 v73, 0x3dbcf732, v21
	v_fmac_f32_e32 v5, 0x3f3d2fb0, v30
	v_mul_f32_e32 v38, 0xbf4c4adb, v26
	v_add_f32_e32 v57, v73, v57
	v_fmac_f32_e32 v87, 0x3f3d2fb0, v45
	v_add_f32_e32 v4, v5, v4
	v_mov_b32_e32 v5, v38
	v_add_f32_e32 v57, v87, v57
	v_fmac_f32_e32 v88, 0xbf7ba420, v24
	v_fmac_f32_e32 v5, 0xbf1a4643, v29
	v_mul_f32_e32 v76, 0x3f65296c, v43
	v_add_f32_e32 v58, v88, v57
	v_fma_f32 v57, v67, s16, -v89
	v_fmac_f32_e32 v90, 0x3ee437d1, v8
	v_mul_f32_e32 v66, 0xbf59a7d5, v49
	v_add_f32_e32 v4, v5, v4
	v_mov_b32_e32 v5, v76
	v_add_f32_e32 v57, v57, v56
	v_add_f32_e32 v56, v90, v58
	v_mov_b32_e32 v58, v66
	v_mul_f32_e32 v71, 0x3f3d2fb0, v31
	v_fmac_f32_e32 v5, 0x3ee437d1, v46
	v_mul_f32_e32 v91, 0xbf763a35, v44
	v_fmac_f32_e32 v58, 0xbf06c442, v22
	v_mov_b32_e32 v59, v71
	v_add_f32_e32 v4, v5, v4
	v_mov_b32_e32 v5, v91
	v_add_f32_e32 v58, v58, v81
	v_fmac_f32_e32 v59, 0xbf2c7751, v14
	v_mul_f32_e32 v73, 0x3ee437d1, v30
	v_fmac_f32_e32 v5, 0xbe8c1d8e, v47
	v_mul_f32_e32 v92, 0x3eb8f4ab, v16
	v_add_f32_e32 v58, v59, v58
	v_mov_b32_e32 v59, v73
	v_add_f32_e32 v4, v5, v4
	v_fma_f32 v5, v12, s18, -v92
	v_fmac_f32_e32 v59, 0x3f65296c, v25
	v_mul_f32_e32 v80, 0xbf7ba420, v29
	v_add_f32_e32 v5, v5, v62
	v_mul_f32_e32 v62, 0xbf06c442, v15
	v_add_f32_e32 v58, v59, v58
	v_mov_b32_e32 v59, v80
	v_fma_f32 v93, v13, s9, -v62
	v_fma_f32 v6, v49, s18, -v6
	v_fmac_f32_e32 v59, 0x3e3c28d5, v26
	v_mul_f32_e32 v81, 0x3dbcf732, v46
	v_add_f32_e32 v5, v93, v5
	v_mul_f32_e32 v93, 0x3f2c7751, v28
	v_add_f32_e32 v6, v6, v77
	v_fma_f32 v7, v31, s9, -v7
	v_add_f32_e32 v58, v59, v58
	v_mov_b32_e32 v59, v81
	v_fma_f32 v94, v20, s17, -v93
	v_add_f32_e32 v6, v7, v6
	v_fma_f32 v7, v30, s17, -v37
	v_fmac_f32_e32 v59, 0xbf7ee86f, v43
	v_mul_f32_e32 v87, 0x3f6eb680, v47
	v_add_f32_e32 v5, v94, v5
	v_mul_f32_e32 v94, 0xbf4c4adb, v23
	v_add_f32_e32 v6, v7, v6
	v_fma_f32 v7, v29, s8, -v38
	v_add_f32_e32 v58, v59, v58
	v_mov_b32_e32 v59, v87
	v_fma_f32 v95, v21, s8, -v94
	v_add_f32_e32 v6, v7, v6
	v_fma_f32 v7, v46, s16, -v76
	v_fmac_f32_e32 v59, 0x3eb8f4ab, v44
	v_mul_f32_e32 v88, 0x3f06c442, v16
	v_add_f32_e32 v5, v95, v5
	v_mul_f32_e32 v95, 0x3f65296c, v48
	v_add_f32_e32 v6, v7, v6
	v_fma_f32 v7, v47, s14, -v91
	v_fmac_f32_e32 v92, 0x3f6eb680, v12
	v_add_f32_e32 v58, v59, v58
	v_mov_b32_e32 v59, v88
	v_fma_f32 v96, v45, s16, -v95
	v_add_f32_e32 v6, v7, v6
	v_add_f32_e32 v7, v92, v78
	v_fmac_f32_e32 v62, 0xbf59a7d5, v13
	v_fmac_f32_e32 v59, 0xbf59a7d5, v12
	v_add_f32_e32 v5, v96, v5
	v_mul_f32_e32 v96, 0xbf763a35, v27
	v_add_f32_e32 v7, v62, v7
	v_fmac_f32_e32 v93, 0x3f3d2fb0, v20
	v_add_f32_e32 v59, v59, v68
	v_mul_f32_e32 v68, 0x3f2c7751, v15
	v_fma_f32 v97, v24, s14, -v96
	v_mul_f32_e32 v98, 0x3f7ee86f, v10
	v_add_f32_e32 v7, v93, v7
	v_fmac_f32_e32 v94, 0xbf1a4643, v21
	v_mov_b32_e32 v60, v68
	v_add_f32_e32 v97, v97, v5
	v_mov_b32_e32 v5, v98
	v_add_f32_e32 v7, v94, v7
	v_fmac_f32_e32 v95, 0x3ee437d1, v45
	v_fmac_f32_e32 v60, 0x3f3d2fb0, v13
	v_mul_f32_e32 v89, 0xbf65296c, v28
	v_fmac_f32_e32 v5, 0x3dbcf732, v67
	v_mul_f32_e32 v99, 0x3f7ee86f, v69
	v_add_f32_e32 v7, v95, v7
	v_fmac_f32_e32 v96, 0xbe8c1d8e, v24
	v_add_f32_e32 v59, v60, v59
	v_mov_b32_e32 v60, v89
	v_add_f32_e32 v5, v5, v4
	v_fma_f32 v4, v8, s15, -v99
	v_add_f32_e32 v37, v96, v7
	v_fma_f32 v7, v67, s15, -v98
	v_fmac_f32_e32 v99, 0x3dbcf732, v8
	v_mul_f32_e32 v76, 0x3ee437d1, v49
	v_fmac_f32_e32 v60, 0x3ee437d1, v20
	v_mul_f32_e32 v90, 0xbe3c28d5, v23
	v_add_f32_e32 v7, v7, v6
	v_add_f32_e32 v6, v99, v37
	v_mov_b32_e32 v37, v76
	v_mul_f32_e32 v77, 0x3dbcf732, v31
	v_add_f32_e32 v59, v60, v59
	v_mov_b32_e32 v60, v90
	v_fmac_f32_e32 v37, 0xbf65296c, v22
	v_mov_b32_e32 v38, v77
	v_fmac_f32_e32 v60, 0xbf7ba420, v21
	v_mul_f32_e32 v101, 0x3f7ee86f, v48
	v_add_f32_e32 v37, v37, v79
	v_fmac_f32_e32 v38, 0x3f7ee86f, v14
	v_mul_f32_e32 v78, 0xbf1a4643, v30
	v_add_f32_e32 v59, v60, v59
	v_mov_b32_e32 v60, v101
	v_add_f32_e32 v37, v38, v37
	v_mov_b32_e32 v38, v78
	v_fmac_f32_e32 v60, 0x3dbcf732, v45
	v_mul_f32_e32 v102, 0xbeb8f4ab, v27
	v_fmac_f32_e32 v38, 0xbf4c4adb, v25
	v_mul_f32_e32 v79, 0x3f6eb680, v29
	v_add_f32_e32 v59, v60, v59
	v_mov_b32_e32 v60, v102
	v_add_f32_e32 v37, v38, v37
	v_mov_b32_e32 v38, v79
	v_fmac_f32_e32 v60, 0x3f6eb680, v24
	v_mul_f32_e32 v103, 0xbf1a4643, v67
	;; [unrolled: 8-line block ×4, first 2 shown]
	v_fmac_f32_e32 v38, 0xbf2c7751, v44
	v_mul_f32_e32 v93, 0x3f65296c, v16
	v_add_f32_e32 v58, v58, v60
	v_mov_b32_e32 v60, v105
	v_add_f32_e32 v37, v38, v37
	v_mov_b32_e32 v38, v93
	v_mul_f32_e32 v94, 0xbf7ee86f, v15
	v_fmac_f32_e32 v60, 0x3e3c28d5, v22
	v_fmac_f32_e32 v38, 0x3ee437d1, v12
	v_mov_b32_e32 v62, v94
	v_add_f32_e32 v60, v60, v82
	v_mul_f32_e32 v82, 0xbe8c1d8e, v31
	v_add_f32_e32 v38, v38, v64
	v_fmac_f32_e32 v62, 0x3dbcf732, v13
	v_mul_f32_e32 v95, 0x3f4c4adb, v28
	v_mov_b32_e32 v61, v82
	v_add_f32_e32 v38, v62, v38
	v_mov_b32_e32 v62, v95
	v_fmac_f32_e32 v61, 0xbf763a35, v14
	v_mul_f32_e32 v106, 0x3f6eb680, v30
	v_fmac_f32_e32 v62, 0xbf1a4643, v20
	v_mul_f32_e32 v96, 0xbeb8f4ab, v23
	v_add_f32_e32 v60, v61, v60
	v_mov_b32_e32 v61, v106
	v_add_f32_e32 v38, v62, v38
	v_mov_b32_e32 v62, v96
	v_fmac_f32_e32 v61, 0xbeb8f4ab, v25
	v_mul_f32_e32 v107, 0x3ee437d1, v29
	v_add_f32_e32 v4, v4, v97
	v_fmac_f32_e32 v62, 0x3f6eb680, v21
	v_mul_f32_e32 v97, 0xbe3c28d5, v48
	v_add_f32_e32 v60, v61, v60
	v_mov_b32_e32 v61, v107
	v_add_f32_e32 v38, v62, v38
	v_mov_b32_e32 v62, v97
	v_fmac_f32_e32 v61, 0x3f65296c, v26
	v_mul_f32_e32 v108, 0xbf59a7d5, v46
	v_fmac_f32_e32 v62, 0xbf7ba420, v45
	v_mul_f32_e32 v98, 0x3f2c7751, v27
	v_add_f32_e32 v60, v61, v60
	v_mov_b32_e32 v61, v108
	v_add_f32_e32 v38, v62, v38
	v_mov_b32_e32 v62, v98
	v_fmac_f32_e32 v61, 0x3f06c442, v43
	v_mul_f32_e32 v109, 0xbf1a4643, v47
	;; [unrolled: 8-line block ×3, first 2 shown]
	v_fmac_f32_e32 v38, 0x3f763a35, v10
	v_mul_f32_e32 v100, 0xbf763a35, v69
	v_add_f32_e32 v60, v61, v60
	v_mov_b32_e32 v61, v110
	v_add_f32_e32 v38, v38, v37
	v_mov_b32_e32 v37, v100
	v_fmac_f32_e32 v61, 0xbf7ba420, v12
	v_fmac_f32_e32 v37, 0xbe8c1d8e, v8
	v_add_f32_e32 v61, v61, v70
	v_mul_f32_e32 v70, 0x3f763a35, v15
	v_add_f32_e32 v37, v37, v62
	v_mov_b32_e32 v62, v70
	v_fmac_f32_e32 v62, 0xbe8c1d8e, v13
	v_mul_f32_e32 v111, 0x3eb8f4ab, v28
	v_add_f32_e32 v61, v62, v61
	v_mov_b32_e32 v62, v111
	v_fmac_f32_e32 v62, 0x3f6eb680, v20
	v_mul_f32_e32 v112, 0xbf65296c, v23
	v_add_f32_e32 v61, v62, v61
	v_mov_b32_e32 v62, v112
	v_fmac_f32_e32 v62, 0x3ee437d1, v21
	v_mul_f32_e32 v113, 0xbf06c442, v48
	v_add_f32_e32 v61, v62, v61
	v_mov_b32_e32 v62, v113
	v_fmac_f32_e32 v62, 0xbf59a7d5, v45
	v_mul_f32_e32 v114, 0x3f4c4adb, v27
	v_add_f32_e32 v61, v62, v61
	v_mov_b32_e32 v62, v114
	v_fmac_f32_e32 v62, 0xbf1a4643, v24
	v_mul_f32_e32 v115, 0x3f3d2fb0, v67
	v_add_f32_e32 v62, v62, v61
	v_mov_b32_e32 v61, v115
	v_fmac_f32_e32 v61, 0xbf2c7751, v10
	v_mul_f32_e32 v116, 0x3f2c7751, v69
	v_add_f32_e32 v61, v61, v60
	v_mov_b32_e32 v60, v116
	v_fmac_f32_e32 v60, 0x3f3d2fb0, v8
	v_mul_f32_e32 v117, 0xbf1a4643, v49
	v_add_f32_e32 v60, v60, v62
	v_mov_b32_e32 v62, v117
	v_fmac_f32_e32 v62, 0x3f4c4adb, v22
	v_add_f32_e32 v62, v62, v83
	v_mul_f32_e32 v83, 0xbf7ba420, v31
	v_mov_b32_e32 v63, v83
	v_fmac_f32_e32 v63, 0xbe3c28d5, v14
	v_mul_f32_e32 v118, 0xbe8c1d8e, v30
	v_add_f32_e32 v62, v63, v62
	v_mov_b32_e32 v63, v118
	v_fmac_f32_e32 v63, 0xbf763a35, v25
	v_mul_f32_e32 v119, 0x3f3d2fb0, v29
	v_add_f32_e32 v62, v63, v62
	;; [unrolled: 4-line block ×5, first 2 shown]
	v_mov_b32_e32 v63, v122
	v_fmac_f32_e32 v63, 0xbf1a4643, v12
	v_add_f32_e32 v63, v63, v72
	v_mul_f32_e32 v72, 0x3e3c28d5, v15
	v_mov_b32_e32 v64, v72
	v_fmac_f32_e32 v64, 0xbf7ba420, v13
	v_mul_f32_e32 v123, 0x3f763a35, v28
	v_add_f32_e32 v63, v64, v63
	v_mov_b32_e32 v64, v123
	v_fmac_f32_e32 v64, 0xbe8c1d8e, v20
	v_mul_f32_e32 v124, 0x3f2c7751, v23
	v_add_f32_e32 v63, v64, v63
	v_mov_b32_e32 v64, v124
	v_fmac_f32_e32 v64, 0x3f3d2fb0, v21
	v_mul_f32_e32 v125, 0xbeb8f4ab, v48
	v_add_f32_e32 v63, v64, v63
	v_mov_b32_e32 v64, v125
	v_fmac_f32_e32 v64, 0x3f6eb680, v45
	v_mul_f32_e32 v126, 0xbf7ee86f, v27
	v_add_f32_e32 v63, v64, v63
	v_mov_b32_e32 v64, v126
	v_fmac_f32_e32 v64, 0x3dbcf732, v24
	v_mul_f32_e32 v127, 0xbf59a7d5, v67
	v_add_f32_e32 v64, v64, v63
	v_mov_b32_e32 v63, v127
	v_fmac_f32_e32 v63, 0x3f06c442, v10
	v_mul_f32_e32 v128, 0xbf06c442, v69
	v_add_f32_e32 v63, v63, v62
	v_mov_b32_e32 v62, v128
	v_fmac_f32_e32 v62, 0xbf59a7d5, v8
	v_mul_f32_e32 v129, 0x3dbcf732, v49
	v_add_f32_e32 v62, v62, v64
	v_mov_b32_e32 v64, v129
	v_fmac_f32_e32 v64, 0x3f7ee86f, v22
	v_add_f32_e32 v64, v64, v84
	v_mul_f32_e32 v84, 0xbf1a4643, v31
	v_mov_b32_e32 v65, v84
	v_fmac_f32_e32 v65, 0x3f4c4adb, v14
	v_mul_f32_e32 v130, 0xbf7ba420, v30
	v_add_f32_e32 v64, v65, v64
	v_mov_b32_e32 v65, v130
	v_fmac_f32_e32 v65, 0x3e3c28d5, v25
	v_mul_f32_e32 v131, 0xbf59a7d5, v29
	v_add_f32_e32 v64, v65, v64
	;; [unrolled: 4-line block ×5, first 2 shown]
	v_mov_b32_e32 v65, v134
	v_fmac_f32_e32 v65, 0x3dbcf732, v12
	v_add_f32_e32 v65, v65, v74
	v_mul_f32_e32 v74, 0xbf4c4adb, v15
	v_mov_b32_e32 v135, v74
	v_fmac_f32_e32 v135, 0xbf1a4643, v13
	v_add_f32_e32 v65, v135, v65
	v_mul_f32_e32 v135, 0xbe3c28d5, v28
	v_mov_b32_e32 v136, v135
	v_fmac_f32_e32 v136, 0xbf7ba420, v20
	v_add_f32_e32 v65, v136, v65
	v_mul_f32_e32 v136, 0x3f06c442, v23
	v_mov_b32_e32 v137, v136
	v_fmac_f32_e32 v137, 0xbf59a7d5, v21
	v_add_f32_e32 v65, v137, v65
	v_mul_f32_e32 v137, 0x3f763a35, v48
	v_mov_b32_e32 v138, v137
	v_fmac_f32_e32 v138, 0xbe8c1d8e, v45
	v_add_f32_e32 v65, v138, v65
	v_mul_f32_e32 v138, 0x3f65296c, v27
	v_mov_b32_e32 v139, v138
	v_fmac_f32_e32 v139, 0x3ee437d1, v24
	v_mul_f32_e32 v140, 0x3f6eb680, v67
	v_add_f32_e32 v139, v139, v65
	v_mov_b32_e32 v65, v140
	v_fmac_f32_e32 v65, 0xbeb8f4ab, v10
	v_mul_f32_e32 v141, 0x3eb8f4ab, v69
	v_add_f32_e32 v65, v65, v64
	v_mov_b32_e32 v64, v141
	v_mul_f32_e32 v145, 0xbf2c7751, v16
	v_fmac_f32_e32 v64, 0x3f6eb680, v8
	v_mov_b32_e32 v16, v145
	v_add_f32_e32 v64, v64, v139
	v_mul_f32_e32 v139, 0x3f3d2fb0, v49
	v_fmac_f32_e32 v16, 0x3f3d2fb0, v12
	v_mov_b32_e32 v49, v139
	v_add_f32_e32 v16, v16, v75
	v_mul_f32_e32 v75, 0xbf65296c, v15
	v_fmac_f32_e32 v49, 0x3f2c7751, v22
	v_mul_f32_e32 v31, 0x3ee437d1, v31
	v_mov_b32_e32 v15, v75
	v_add_f32_e32 v49, v49, v85
	v_mov_b32_e32 v85, v31
	v_fmac_f32_e32 v15, 0x3ee437d1, v13
	v_mul_f32_e32 v146, 0xbf7ee86f, v28
	v_fmac_f32_e32 v85, 0x3f65296c, v14
	v_add_f32_e32 v15, v15, v16
	v_mov_b32_e32 v16, v146
	v_add_f32_e32 v49, v85, v49
	v_mul_f32_e32 v85, 0x3dbcf732, v30
	v_fmac_f32_e32 v16, 0x3dbcf732, v20
	v_mul_f32_e32 v23, 0xbf763a35, v23
	v_mov_b32_e32 v30, v85
	v_mul_f32_e32 v142, 0xbe8c1d8e, v29
	v_add_f32_e32 v15, v16, v15
	v_mov_b32_e32 v16, v23
	v_fmac_f32_e32 v30, 0x3f7ee86f, v25
	v_mov_b32_e32 v29, v142
	v_fmac_f32_e32 v16, 0xbe8c1d8e, v21
	v_mul_f32_e32 v147, 0xbf4c4adb, v48
	v_add_f32_e32 v30, v30, v49
	v_fmac_f32_e32 v29, 0x3f763a35, v26
	v_mul_f32_e32 v143, 0xbf1a4643, v46
	v_add_f32_e32 v15, v16, v15
	v_mov_b32_e32 v16, v147
	v_add_f32_e32 v29, v29, v30
	v_mov_b32_e32 v30, v143
	v_fmac_f32_e32 v16, 0xbf1a4643, v45
	v_mul_f32_e32 v148, 0xbf06c442, v27
	v_fmac_f32_e32 v30, 0x3f4c4adb, v43
	v_mul_f32_e32 v144, 0xbf59a7d5, v47
	v_add_f32_e32 v15, v16, v15
	v_mov_b32_e32 v16, v148
	v_mul_f32_e32 v69, 0xbe3c28d5, v69
	v_add_f32_e32 v29, v30, v29
	v_mov_b32_e32 v30, v144
	v_fmac_f32_e32 v16, 0xbf59a7d5, v24
	v_mul_f32_e32 v67, 0xbf7ba420, v67
	v_mov_b32_e32 v27, v69
	v_fmac_f32_e32 v30, 0x3f06c442, v44
	v_add_f32_e32 v15, v16, v15
	v_mov_b32_e32 v16, v67
	v_fmac_f32_e32 v27, 0xbf7ba420, v8
	v_fmac_f32_e32 v76, 0x3f65296c, v22
	v_add_f32_e32 v29, v30, v29
	v_fmac_f32_e32 v16, 0x3e3c28d5, v10
	v_add_f32_e32 v15, v27, v15
	v_add_f32_e32 v27, v76, v86
	v_fmac_f32_e32 v77, 0xbf7ee86f, v14
	v_fma_f32 v28, v12, s16, -v93
	v_add_f32_e32 v16, v16, v29
	v_add_f32_e32 v27, v77, v27
	v_fmac_f32_e32 v78, 0x3f4c4adb, v25
	v_add_f32_e32 v28, v28, v55
	v_fma_f32 v29, v13, s15, -v94
	v_add_f32_e32 v27, v78, v27
	v_fmac_f32_e32 v79, 0xbeb8f4ab, v26
	v_add_f32_e32 v28, v29, v28
	v_fma_f32 v29, v20, s8, -v95
	v_add_f32_e32 v27, v79, v27
	v_fmac_f32_e32 v91, 0xbe3c28d5, v43
	v_add_f32_e32 v28, v29, v28
	v_fma_f32 v29, v21, s18, -v96
	v_add_f32_e32 v27, v91, v27
	v_fmac_f32_e32 v92, 0x3f2c7751, v44
	v_add_f32_e32 v28, v29, v28
	v_fma_f32 v29, v45, s7, -v97
	v_add_f32_e32 v27, v92, v27
	v_add_f32_e32 v28, v29, v28
	v_fma_f32 v29, v24, s17, -v98
	v_fmac_f32_e32 v99, 0xbf763a35, v10
	v_add_f32_e32 v29, v29, v28
	v_add_f32_e32 v28, v99, v27
	v_fma_f32 v27, v8, s14, -v100
	v_fmac_f32_e32 v66, 0x3f06c442, v22
	v_add_f32_e32 v27, v27, v29
	v_add_f32_e32 v29, v66, v54
	v_fmac_f32_e32 v71, 0x3f2c7751, v14
	v_fma_f32 v30, v12, s9, -v88
	v_add_f32_e32 v29, v71, v29
	v_fmac_f32_e32 v73, 0xbf65296c, v25
	v_add_f32_e32 v30, v30, v53
	v_fma_f32 v46, v13, s17, -v68
	v_add_f32_e32 v29, v73, v29
	v_fmac_f32_e32 v80, 0xbe3c28d5, v26
	v_add_f32_e32 v30, v46, v30
	v_fma_f32 v46, v20, s16, -v89
	v_add_f32_e32 v29, v80, v29
	v_fmac_f32_e32 v81, 0x3f7ee86f, v43
	v_add_f32_e32 v30, v46, v30
	v_fma_f32 v46, v21, s7, -v90
	v_add_f32_e32 v29, v81, v29
	v_fmac_f32_e32 v87, 0xbeb8f4ab, v44
	v_add_f32_e32 v30, v46, v30
	v_fma_f32 v46, v45, s15, -v101
	v_add_f32_e32 v29, v87, v29
	v_add_f32_e32 v30, v46, v30
	v_fma_f32 v46, v24, s18, -v102
	v_fmac_f32_e32 v103, 0xbf4c4adb, v10
	v_add_f32_e32 v46, v46, v30
	v_add_f32_e32 v30, v103, v29
	v_fma_f32 v29, v8, s8, -v104
	v_fmac_f32_e32 v105, 0xbe3c28d5, v22
	v_add_f32_e32 v29, v29, v46
	v_add_f32_e32 v46, v105, v52
	v_fmac_f32_e32 v82, 0x3f763a35, v14
	v_fma_f32 v47, v12, s7, -v110
	;; [unrolled: 28-line block ×3, first 2 shown]
	v_add_f32_e32 v48, v83, v48
	v_fmac_f32_e32 v118, 0x3f763a35, v25
	v_add_f32_e32 v19, v49, v19
	v_fma_f32 v49, v13, s7, -v72
	v_add_f32_e32 v48, v118, v48
	v_fmac_f32_e32 v119, 0x3f2c7751, v26
	v_add_f32_e32 v19, v49, v19
	v_fma_f32 v49, v20, s14, -v123
	;; [unrolled: 4-line block ×4, first 2 shown]
	v_fmac_f32_e32 v139, 0xbf2c7751, v22
	v_add_f32_e32 v48, v121, v48
	v_add_f32_e32 v19, v49, v19
	v_fma_f32 v49, v24, s15, -v126
	v_fmac_f32_e32 v127, 0xbf06c442, v10
	v_add_f32_e32 v11, v139, v11
	v_fmac_f32_e32 v31, 0xbf65296c, v14
	v_add_f32_e32 v19, v49, v19
	v_add_f32_e32 v49, v127, v48
	v_fma_f32 v48, v8, s9, -v128
	v_add_f32_e32 v11, v31, v11
	v_fmac_f32_e32 v85, 0xbf7ee86f, v25
	v_add_f32_e32 v48, v48, v19
	v_fma_f32 v19, v12, s15, -v134
	v_fmac_f32_e32 v140, 0x3eb8f4ab, v10
	v_add_f32_e32 v11, v85, v11
	v_fmac_f32_e32 v142, 0xbf763a35, v26
	v_fmac_f32_e32 v67, 0xbe3c28d5, v10
	v_fma_f32 v10, v12, s17, -v145
	v_fmac_f32_e32 v129, 0xbf7ee86f, v22
	v_add_f32_e32 v17, v19, v17
	v_fma_f32 v19, v13, s8, -v74
	v_add_f32_e32 v11, v142, v11
	v_fmac_f32_e32 v143, 0xbf4c4adb, v43
	v_add_f32_e32 v9, v10, v9
	v_fma_f32 v10, v13, s16, -v75
	v_add_f32_e32 v18, v129, v18
	;; [unrolled: 4-line block ×5, first 2 shown]
	v_add_f32_e32 v9, v10, v9
	v_fma_f32 v10, v21, s14, -v23
	v_add_f32_e32 v18, v130, v18
	v_fmac_f32_e32 v131, 0x3f06c442, v26
	v_add_f32_e32 v17, v19, v17
	v_fma_f32 v19, v45, s14, -v137
	v_add_f32_e32 v10, v10, v9
	v_add_f32_e32 v9, v67, v11
	v_fma_f32 v11, v45, s8, -v147
	v_add_f32_e32 v18, v131, v18
	v_fmac_f32_e32 v132, 0x3f763a35, v43
	v_add_f32_e32 v17, v19, v17
	v_fma_f32 v19, v24, s16, -v138
	v_add_f32_e32 v10, v11, v10
	v_fma_f32 v11, v24, s9, -v148
	v_add_f32_e32 v18, v132, v18
	v_fmac_f32_e32 v133, 0x3f65296c, v44
	v_add_f32_e32 v17, v19, v17
	v_fma_f32 v19, v8, s18, -v141
	v_add_f32_e32 v10, v11, v10
	v_fma_f32 v8, v8, s7, -v69
	v_add_f32_e32 v18, v133, v18
	v_add_f32_e32 v8, v8, v10
	v_lshl_add_u32 v10, v36, 7, v39
	v_add_f32_e32 v18, v140, v18
	v_add_f32_e32 v17, v19, v17
	ds_write2_b64 v10, v[0:1], v[15:16] offset1:1
	ds_write2_b64 v10, v[64:65], v[62:63] offset0:2 offset1:3
	ds_write2_b64 v10, v[60:61], v[58:59] offset0:4 offset1:5
	;; [unrolled: 1-line block ×7, first 2 shown]
	ds_write_b64 v10, v[8:9] offset:128
.LBB0_21:
	s_or_b64 exec, exec, s[4:5]
	s_movk_i32 s4, 0xf1
	v_mul_lo_u16_sdwa v31, v36, s4 dst_sel:DWORD dst_unused:UNUSED_PAD src0_sel:BYTE_0 src1_sel:DWORD
	v_lshrrev_b16_e32 v57, 12, v31
	v_add_u16_e32 v59, 0x77, v36
	v_mul_lo_u16_e32 v4, 17, v57
	v_mul_lo_u16_sdwa v60, v59, s4 dst_sel:DWORD dst_unused:UNUSED_PAD src0_sel:BYTE_0 src1_sel:DWORD
	v_sub_u16_e32 v5, v36, v4
	v_mov_b32_e32 v4, 3
	v_lshrrev_b16_e32 v61, 12, v60
	v_lshlrev_b32_sdwa v58, v4, v5 dst_sel:DWORD dst_unused:UNUSED_PAD src0_sel:DWORD src1_sel:BYTE_0
	v_mul_lo_u16_e32 v5, 17, v61
	v_add_u32_e32 v0, 0xee, v36
	v_sub_u16_e32 v5, v59, v5
	s_mov_b32 s4, 0xf0f1
	v_lshlrev_b32_sdwa v62, v4, v5 dst_sel:DWORD dst_unused:UNUSED_PAD src0_sel:DWORD src1_sel:BYTE_0
	v_mul_u32_u24_sdwa v5, v0, s4 dst_sel:DWORD dst_unused:UNUSED_PAD src0_sel:WORD_0 src1_sel:DWORD
	v_lshrrev_b32_e32 v63, 20, v5
	v_mul_lo_u16_e32 v5, 17, v63
	v_add_u32_e32 v1, 0x165, v36
	v_sub_u16_e32 v0, v0, v5
	v_lshlrev_b32_e32 v64, 3, v0
	v_mul_u32_u24_sdwa v0, v1, s4 dst_sel:DWORD dst_unused:UNUSED_PAD src0_sel:WORD_0 src1_sel:DWORD
	v_lshrrev_b32_e32 v65, 20, v0
	v_mul_lo_u16_e32 v0, 17, v65
	v_add_u32_e32 v2, 0x1dc, v36
	v_sub_u16_e32 v0, v1, v0
	v_lshlrev_b32_e32 v66, 3, v0
	;; [unrolled: 6-line block ×3, first 2 shown]
	v_mul_u32_u24_sdwa v0, v3, s4 dst_sel:DWORD dst_unused:UNUSED_PAD src0_sel:WORD_0 src1_sel:DWORD
	v_lshrrev_b32_e32 v69, 20, v0
	v_mul_lo_u16_e32 v0, 17, v69
	v_sub_u16_e32 v0, v3, v0
	v_lshlrev_b32_e32 v3, 3, v0
	v_add_u32_e32 v0, 0x2ca, v36
	v_mul_u32_u24_sdwa v1, v0, s4 dst_sel:DWORD dst_unused:UNUSED_PAD src0_sel:WORD_0 src1_sel:DWORD
	v_lshrrev_b32_e32 v70, 20, v1
	v_mul_lo_u16_e32 v1, 17, v70
	v_sub_u16_e32 v0, v0, v1
	v_lshlrev_b32_e32 v71, 3, v0
	s_waitcnt lgkmcnt(0)
	s_barrier
	global_load_dwordx2 v[29:30], v58, s[12:13]
	global_load_dwordx2 v[37:38], v62, s[12:13]
	;; [unrolled: 1-line block ×7, first 2 shown]
	v_add_u32_e32 v1, 0x1400, v39
	v_add_u32_e32 v2, 0xc00, v39
	ds_read2_b64 v[5:8], v39 offset1:119
	ds_read2_b64 v[9:12], v41 offset0:56 offset1:175
	ds_read2_b64 v[13:16], v40 offset0:110 offset1:229
	ds_read_b64 v[53:54], v39 offset:9520
	ds_read2_b64 v[17:20], v1 offset0:74 offset1:193
	ds_read2_b32 v[55:56], v42 offset0:58 offset1:59
	v_add_u32_e32 v0, 0x2c00, v39
	ds_read2_b64 v[21:24], v2 offset0:92 offset1:211
	ds_read2_b64 v[25:28], v0 offset0:20 offset1:139
	s_waitcnt vmcnt(0) lgkmcnt(0)
	s_barrier
	v_lshrrev_b16_e32 v31, 13, v31
	s_mov_b32 s4, 0xbf5ff5aa
	s_mov_b32 s7, 0x3f3bfb3b
	;; [unrolled: 1-line block ×4, first 2 shown]
	v_mul_f32_e32 v42, v30, v20
	v_mul_f32_e32 v30, v30, v19
	;; [unrolled: 1-line block ×6, first 2 shown]
	v_fmac_f32_e32 v42, v29, v19
	v_fma_f32 v19, v29, v20, -v30
	v_fmac_f32_e32 v72, v37, v9
	v_mul_f32_e32 v9, v27, v52
	v_fma_f32 v20, v37, v10, -v38
	v_fma_f32 v29, v43, v12, -v44
	;; [unrolled: 1-line block ×3, first 2 shown]
	v_sub_f32_e32 v9, v5, v42
	v_sub_f32_e32 v10, v6, v19
	v_mul_u32_u24_e32 v42, 0x110, v57
	v_fma_f32 v5, v5, 2.0, -v9
	v_fma_f32 v6, v6, 2.0, -v10
	v_add3_u32 v42, 0, v42, v58
	v_fmac_f32_e32 v73, v43, v11
	v_sub_f32_e32 v11, v7, v72
	v_sub_f32_e32 v12, v8, v20
	ds_write2_b64 v42, v[5:6], v[9:10] offset1:17
	v_mul_u32_u24_e32 v5, 0x110, v61
	v_fma_f32 v7, v7, 2.0, -v11
	v_fma_f32 v8, v8, 2.0, -v12
	v_add3_u32 v5, 0, v5, v62
	v_mul_f32_e32 v74, v46, v54
	v_mul_f32_e32 v46, v46, v53
	v_sub_f32_e32 v19, v13, v73
	v_sub_f32_e32 v20, v14, v29
	ds_write2_b64 v5, v[7:8], v[11:12] offset1:17
	v_mul_u32_u24_e32 v5, 0x110, v63
	v_mul_f32_e32 v76, v26, v50
	v_mul_f32_e32 v50, v25, v50
	v_fmac_f32_e32 v74, v45, v53
	v_fma_f32 v30, v45, v54, -v46
	v_fma_f32 v13, v13, 2.0, -v19
	v_fma_f32 v14, v14, 2.0, -v20
	v_add3_u32 v5, 0, v5, v64
	v_mul_f32_e32 v75, v56, v48
	v_mul_f32_e32 v48, v48, v55
	v_fmac_f32_e32 v76, v25, v49
	v_fma_f32 v38, v26, v49, -v50
	v_sub_f32_e32 v25, v15, v74
	v_sub_f32_e32 v26, v16, v30
	ds_write2_b64 v5, v[13:14], v[19:20] offset1:17
	v_mul_u32_u24_e32 v5, 0x110, v65
	v_fmac_f32_e32 v75, v47, v55
	v_fma_f32 v37, v56, v47, -v48
	v_mul_f32_e32 v43, v28, v52
	v_fma_f32 v15, v15, 2.0, -v25
	v_fma_f32 v16, v16, 2.0, -v26
	v_add3_u32 v5, 0, v5, v66
	v_fmac_f32_e32 v43, v27, v51
	v_sub_f32_e32 v27, v21, v75
	v_sub_f32_e32 v28, v22, v37
	ds_write2_b64 v5, v[15:16], v[25:26] offset1:17
	v_mul_u32_u24_e32 v5, 0x110, v67
	v_fma_f32 v21, v21, 2.0, -v27
	v_fma_f32 v22, v22, 2.0, -v28
	v_add3_u32 v5, 0, v5, v68
	v_sub_f32_e32 v29, v23, v76
	v_sub_f32_e32 v30, v24, v38
	ds_write2_b64 v5, v[21:22], v[27:28] offset1:17
	v_mul_u32_u24_e32 v5, 0x110, v69
	v_fma_f32 v23, v23, 2.0, -v29
	v_fma_f32 v24, v24, 2.0, -v30
	v_add3_u32 v3, 0, v5, v3
	;; [unrolled: 7-line block ×3, first 2 shown]
	ds_write2_b64 v3, v[17:18], v[37:38] offset1:17
	v_mul_lo_u16_e32 v3, 34, v31
	v_sub_u16_e32 v70, v36, v3
	v_mov_b32_e32 v3, 6
	v_mul_u32_u24_sdwa v5, v70, v3 dst_sel:DWORD dst_unused:UNUSED_PAD src0_sel:BYTE_0 src1_sel:DWORD
	v_lshlrev_b32_e32 v17, 3, v5
	s_waitcnt lgkmcnt(0)
	s_barrier
	global_load_dwordx4 v[5:8], v17, s[12:13] offset:136
	global_load_dwordx4 v[9:12], v17, s[12:13] offset:152
	;; [unrolled: 1-line block ×3, first 2 shown]
	v_lshrrev_b16_e32 v71, 13, v60
	v_mul_lo_u16_e32 v17, 34, v71
	v_sub_u16_e32 v72, v59, v17
	v_mul_u32_u24_sdwa v3, v72, v3 dst_sel:DWORD dst_unused:UNUSED_PAD src0_sel:BYTE_0 src1_sel:DWORD
	v_lshlrev_b32_e32 v3, 3, v3
	global_load_dwordx4 v[17:20], v3, s[12:13] offset:136
	global_load_dwordx4 v[21:24], v3, s[12:13] offset:152
	;; [unrolled: 1-line block ×3, first 2 shown]
	ds_read2_b64 v[42:45], v39 offset1:119
	ds_read2_b64 v[46:49], v40 offset0:110 offset1:229
	ds_read2_b64 v[50:53], v2 offset0:92 offset1:211
	;; [unrolled: 1-line block ×4, first 2 shown]
	v_add_u32_e32 v3, 0x2400, v39
	ds_read2_b64 v[62:65], v3 offset0:38 offset1:157
	ds_read2_b64 v[66:69], v0 offset0:20 offset1:139
	v_mul_u32_u24_e32 v31, 0x770, v31
	s_waitcnt vmcnt(0) lgkmcnt(0)
	s_barrier
	v_mul_f32_e32 v29, v6, v47
	v_mul_f32_e32 v6, v6, v46
	v_fmac_f32_e32 v29, v5, v46
	v_fma_f32 v5, v5, v47, -v6
	v_mul_f32_e32 v6, v8, v51
	v_mul_f32_e32 v8, v8, v50
	v_fmac_f32_e32 v6, v7, v50
	v_fma_f32 v7, v7, v51, -v8
	;; [unrolled: 4-line block ×6, first 2 shown]
	v_mul_f32_e32 v16, v48, v18
	v_fma_f32 v37, v49, v17, -v16
	v_mul_f32_e32 v38, v53, v20
	v_mul_f32_e32 v16, v52, v20
	v_fmac_f32_e32 v38, v52, v19
	v_fma_f32 v19, v53, v19, -v16
	v_mul_f32_e32 v20, v57, v22
	v_mul_f32_e32 v16, v56, v22
	v_fmac_f32_e32 v20, v56, v21
	;; [unrolled: 4-line block ×3, first 2 shown]
	v_fma_f32 v23, v61, v23, -v16
	v_mul_f32_e32 v24, v65, v26
	v_mul_f32_e32 v16, v64, v26
	;; [unrolled: 1-line block ×3, first 2 shown]
	v_fmac_f32_e32 v24, v64, v25
	v_fma_f32 v25, v65, v25, -v16
	v_mul_f32_e32 v26, v69, v28
	v_mul_f32_e32 v16, v68, v28
	v_fmac_f32_e32 v30, v48, v17
	v_fmac_f32_e32 v26, v68, v27
	v_fma_f32 v27, v69, v27, -v16
	v_add_f32_e32 v16, v29, v14
	v_add_f32_e32 v17, v5, v15
	v_sub_f32_e32 v5, v5, v15
	v_add_f32_e32 v15, v6, v12
	v_add_f32_e32 v18, v7, v13
	v_sub_f32_e32 v6, v6, v12
	v_sub_f32_e32 v7, v7, v13
	v_add_f32_e32 v12, v8, v10
	v_add_f32_e32 v13, v9, v11
	v_sub_f32_e32 v8, v10, v8
	v_sub_f32_e32 v9, v11, v9
	v_add_f32_e32 v10, v15, v16
	v_add_f32_e32 v11, v18, v17
	;; [unrolled: 1-line block ×4, first 2 shown]
	v_sub_f32_e32 v14, v29, v14
	v_sub_f32_e32 v29, v18, v17
	;; [unrolled: 1-line block ×4, first 2 shown]
	v_add_f32_e32 v46, v8, v6
	v_sub_f32_e32 v49, v9, v7
	v_sub_f32_e32 v9, v5, v9
	;; [unrolled: 1-line block ×3, first 2 shown]
	v_add_f32_e32 v11, v13, v11
	v_add_f32_e32 v13, v47, v5
	;; [unrolled: 1-line block ×3, first 2 shown]
	v_sub_f32_e32 v28, v15, v16
	v_sub_f32_e32 v16, v16, v12
	;; [unrolled: 1-line block ×5, first 2 shown]
	v_add_f32_e32 v12, v46, v14
	v_add_f32_e32 v6, v11, v43
	v_mul_f32_e32 v46, 0x3f08b237, v49
	v_mov_b32_e32 v49, v5
	v_sub_f32_e32 v8, v14, v8
	v_mul_f32_e32 v14, 0x3f4a47b2, v16
	v_mul_f32_e32 v16, 0x3f4a47b2, v17
	;; [unrolled: 1-line block ×6, first 2 shown]
	v_fmac_f32_e32 v49, 0xbf955555, v10
	v_mov_b32_e32 v10, v6
	v_mul_f32_e32 v48, 0xbf5ff5aa, v7
	v_fmac_f32_e32 v10, 0xbf955555, v11
	v_fma_f32 v11, v28, s7, -v17
	v_fma_f32 v17, v29, s7, -v42
	;; [unrolled: 1-line block ×3, first 2 shown]
	v_fmac_f32_e32 v14, 0x3d64c772, v15
	v_fma_f32 v15, v29, s5, -v16
	v_fmac_f32_e32 v16, 0x3d64c772, v18
	v_fma_f32 v18, v50, s4, -v43
	v_fma_f32 v29, v7, s4, -v46
	;; [unrolled: 1-line block ×3, first 2 shown]
	v_fmac_f32_e32 v43, 0xbeae86e6, v8
	v_fmac_f32_e32 v46, 0xbeae86e6, v9
	v_fma_f32 v47, v9, s8, -v48
	v_add_f32_e32 v48, v14, v49
	v_add_f32_e32 v50, v16, v10
	;; [unrolled: 1-line block ×6, first 2 shown]
	v_fmac_f32_e32 v18, 0xbee1c552, v12
	v_fmac_f32_e32 v29, 0xbee1c552, v13
	;; [unrolled: 1-line block ×6, first 2 shown]
	v_sub_f32_e32 v10, v28, v42
	v_sub_f32_e32 v11, v14, v29
	v_add_f32_e32 v12, v18, v16
	v_add_f32_e32 v13, v29, v14
	v_sub_f32_e32 v14, v16, v18
	v_add_f32_e32 v16, v42, v28
	v_add_f32_e32 v28, v30, v26
	;; [unrolled: 3-line block ×3, first 2 shown]
	v_sub_f32_e32 v27, v37, v27
	v_add_f32_e32 v37, v19, v25
	v_sub_f32_e32 v19, v19, v25
	v_add_f32_e32 v25, v20, v22
	;; [unrolled: 2-line block ×5, first 2 shown]
	v_add_f32_e32 v22, v25, v22
	v_add_f32_e32 v7, v46, v48
	;; [unrolled: 1-line block ×3, first 2 shown]
	v_sub_f32_e32 v15, v17, v47
	v_sub_f32_e32 v17, v48, v46
	v_add_f32_e32 v47, v21, v19
	v_sub_f32_e32 v48, v20, v24
	v_sub_f32_e32 v49, v21, v19
	;; [unrolled: 1-line block ×3, first 2 shown]
	v_add_f32_e32 v23, v38, v23
	v_add_f32_e32 v19, v22, v44
	v_sub_f32_e32 v8, v50, v43
	v_add_f32_e32 v18, v43, v50
	v_sub_f32_e32 v42, v30, v28
	v_sub_f32_e32 v43, v37, v29
	;; [unrolled: 1-line block ×6, first 2 shown]
	v_add_f32_e32 v46, v20, v24
	v_sub_f32_e32 v50, v26, v20
	v_add_f32_e32 v20, v23, v45
	v_mul_f32_e32 v44, 0x3f08b237, v48
	v_mov_b32_e32 v48, v19
	v_sub_f32_e32 v21, v27, v21
	v_sub_f32_e32 v24, v24, v26
	v_add_f32_e32 v25, v46, v26
	v_add_f32_e32 v26, v47, v27
	v_mul_f32_e32 v27, 0x3f4a47b2, v28
	v_mul_f32_e32 v28, 0x3f4a47b2, v29
	;; [unrolled: 1-line block ×5, first 2 shown]
	v_fmac_f32_e32 v48, 0xbf955555, v22
	v_mov_b32_e32 v22, v20
	v_mul_f32_e32 v46, 0xbf5ff5aa, v24
	v_mul_f32_e32 v47, 0xbf5ff5aa, v51
	v_fmac_f32_e32 v22, 0xbf955555, v23
	v_fma_f32 v23, v42, s7, -v29
	v_fma_f32 v29, v43, s7, -v38
	;; [unrolled: 1-line block ×3, first 2 shown]
	v_fmac_f32_e32 v27, 0x3d64c772, v30
	v_fma_f32 v42, v51, s4, -v45
	v_fma_f32 v30, v43, s5, -v28
	v_fmac_f32_e32 v28, 0x3d64c772, v37
	v_fma_f32 v37, v24, s4, -v44
	v_fmac_f32_e32 v44, 0xbeae86e6, v50
	v_fma_f32 v43, v50, s8, -v46
	v_fma_f32 v46, v21, s8, -v47
	v_add_f32_e32 v47, v27, v48
	v_add_f32_e32 v27, v23, v48
	v_fmac_f32_e32 v42, 0xbee1c552, v26
	v_fmac_f32_e32 v44, 0xbee1c552, v25
	;; [unrolled: 1-line block ×4, first 2 shown]
	v_sub_f32_e32 v25, v27, v42
	v_add_f32_e32 v27, v42, v27
	v_lshlrev_b32_sdwa v42, v4, v70 dst_sel:DWORD dst_unused:UNUSED_PAD src0_sel:DWORD src1_sel:BYTE_0
	v_fmac_f32_e32 v45, 0xbeae86e6, v21
	v_add3_u32 v31, 0, v31, v42
	v_add_f32_e32 v49, v28, v22
	v_fmac_f32_e32 v45, 0xbee1c552, v26
	ds_write2_b64 v31, v[5:6], v[7:8] offset1:34
	ds_write2_b64 v31, v[9:10], v[11:12] offset0:68 offset1:102
	ds_write2_b64 v31, v[13:14], v[15:16] offset0:136 offset1:170
	ds_write_b64 v31, v[17:18] offset:1632
	v_mul_u32_u24_e32 v5, 0x770, v71
	v_lshlrev_b32_sdwa v4, v4, v72 dst_sel:DWORD dst_unused:UNUSED_PAD src0_sel:DWORD src1_sel:BYTE_0
	v_add_f32_e32 v28, v29, v22
	v_add_f32_e32 v29, v38, v48
	;; [unrolled: 1-line block ×3, first 2 shown]
	v_fmac_f32_e32 v46, 0xbee1c552, v26
	v_add_f32_e32 v21, v45, v47
	v_sub_f32_e32 v22, v49, v44
	v_add3_u32 v4, 0, v5, v4
	v_add_f32_e32 v23, v46, v29
	v_sub_f32_e32 v24, v30, v43
	v_add_f32_e32 v26, v37, v28
	v_sub_f32_e32 v28, v28, v37
	v_sub_f32_e32 v29, v29, v46
	v_add_f32_e32 v30, v43, v30
	v_sub_f32_e32 v37, v47, v45
	v_add_f32_e32 v38, v44, v49
	ds_write2_b64 v4, v[19:20], v[21:22] offset1:34
	ds_write2_b64 v4, v[23:24], v[25:26] offset0:68 offset1:102
	ds_write2_b64 v4, v[27:28], v[29:30] offset0:136 offset1:170
	ds_write_b64 v4, v[37:38] offset:1632
	v_mul_u32_u24_e32 v4, 6, v36
	v_lshlrev_b32_e32 v16, 3, v4
	s_waitcnt lgkmcnt(0)
	s_barrier
	global_load_dwordx4 v[4:7], v16, s[12:13] offset:1768
	global_load_dwordx4 v[8:11], v16, s[12:13] offset:1784
	v_mov_b32_e32 v17, s13
	v_add_co_u32_e32 v20, vcc, s12, v16
	v_addc_co_u32_e32 v21, vcc, 0, v17, vcc
	global_load_dwordx4 v[12:15], v16, s[12:13] offset:1800
	v_add_co_u32_e32 v16, vcc, s6, v20
	v_addc_co_u32_e32 v17, vcc, 0, v21, vcc
	global_load_dwordx4 v[16:19], v[16:17], off offset:3384
	s_movk_i32 s6, 0x1d38
	v_add_co_u32_e32 v28, vcc, s6, v20
	v_addc_co_u32_e32 v29, vcc, 0, v21, vcc
	global_load_dwordx4 v[20:23], v[28:29], off offset:16
	global_load_dwordx4 v[24:27], v[28:29], off offset:32
	ds_read2_b64 v[28:31], v39 offset1:119
	ds_read2_b64 v[42:45], v40 offset0:110 offset1:229
	ds_read2_b64 v[46:49], v2 offset0:92 offset1:211
	;; [unrolled: 1-line block ×6, first 2 shown]
	s_waitcnt vmcnt(0) lgkmcnt(0)
	s_barrier
	v_mul_f32_e32 v37, v5, v43
	v_mul_f32_e32 v5, v5, v42
	v_fmac_f32_e32 v37, v4, v42
	v_fma_f32 v4, v4, v43, -v5
	v_mul_f32_e32 v5, v7, v47
	v_mul_f32_e32 v7, v7, v46
	v_fmac_f32_e32 v5, v6, v46
	v_fma_f32 v6, v6, v47, -v7
	;; [unrolled: 4-line block ×6, first 2 shown]
	v_mul_f32_e32 v15, v44, v17
	v_fma_f32 v42, v45, v16, -v15
	v_mul_f32_e32 v43, v49, v19
	v_mul_f32_e32 v15, v48, v19
	v_fmac_f32_e32 v43, v48, v18
	v_fma_f32 v18, v49, v18, -v15
	v_mul_f32_e32 v19, v53, v21
	v_mul_f32_e32 v15, v52, v21
	v_fmac_f32_e32 v19, v52, v20
	;; [unrolled: 4-line block ×3, first 2 shown]
	v_fma_f32 v22, v57, v22, -v15
	v_mul_f32_e32 v23, v61, v25
	v_mul_f32_e32 v15, v60, v25
	;; [unrolled: 1-line block ×3, first 2 shown]
	v_fmac_f32_e32 v23, v60, v24
	v_fma_f32 v24, v61, v24, -v15
	v_mul_f32_e32 v25, v65, v27
	v_mul_f32_e32 v15, v64, v27
	v_fmac_f32_e32 v38, v44, v16
	v_fmac_f32_e32 v25, v64, v26
	v_fma_f32 v26, v65, v26, -v15
	v_add_f32_e32 v15, v37, v13
	v_add_f32_e32 v16, v4, v14
	v_sub_f32_e32 v4, v4, v14
	v_add_f32_e32 v14, v5, v11
	v_add_f32_e32 v17, v6, v12
	v_sub_f32_e32 v5, v5, v11
	v_sub_f32_e32 v6, v6, v12
	v_add_f32_e32 v11, v7, v9
	v_add_f32_e32 v12, v8, v10
	v_sub_f32_e32 v7, v9, v7
	v_sub_f32_e32 v8, v10, v8
	v_add_f32_e32 v9, v14, v15
	v_add_f32_e32 v10, v17, v16
	;; [unrolled: 1-line block ×4, first 2 shown]
	v_sub_f32_e32 v13, v37, v13
	v_sub_f32_e32 v37, v17, v16
	;; [unrolled: 1-line block ×4, first 2 shown]
	v_add_f32_e32 v44, v7, v5
	v_sub_f32_e32 v47, v8, v6
	v_sub_f32_e32 v8, v4, v8
	;; [unrolled: 1-line block ×3, first 2 shown]
	v_add_f32_e32 v10, v12, v10
	v_add_f32_e32 v12, v45, v4
	;; [unrolled: 1-line block ×3, first 2 shown]
	v_sub_f32_e32 v27, v14, v15
	v_sub_f32_e32 v15, v15, v11
	v_sub_f32_e32 v14, v11, v14
	v_sub_f32_e32 v46, v7, v5
	v_sub_f32_e32 v48, v5, v13
	v_add_f32_e32 v11, v44, v13
	v_add_f32_e32 v5, v10, v29
	v_mul_f32_e32 v44, 0x3f08b237, v47
	v_mov_b32_e32 v47, v4
	v_sub_f32_e32 v7, v13, v7
	v_mul_f32_e32 v13, 0x3f4a47b2, v15
	v_mul_f32_e32 v15, 0x3f4a47b2, v16
	;; [unrolled: 1-line block ×6, first 2 shown]
	v_fmac_f32_e32 v47, 0xbf955555, v9
	v_mov_b32_e32 v9, v5
	v_mul_f32_e32 v46, 0xbf5ff5aa, v6
	v_fmac_f32_e32 v9, 0xbf955555, v10
	v_fma_f32 v10, v27, s7, -v16
	v_fma_f32 v16, v37, s7, -v28
	;; [unrolled: 1-line block ×3, first 2 shown]
	v_fmac_f32_e32 v13, 0x3d64c772, v14
	v_fma_f32 v14, v37, s5, -v15
	v_fmac_f32_e32 v15, 0x3d64c772, v17
	v_fma_f32 v17, v48, s4, -v29
	;; [unrolled: 2-line block ×3, first 2 shown]
	v_fma_f32 v37, v7, s8, -v45
	v_fmac_f32_e32 v44, 0xbeae86e6, v8
	v_fma_f32 v45, v8, s8, -v46
	v_add_f32_e32 v46, v13, v47
	v_add_f32_e32 v48, v15, v9
	;; [unrolled: 1-line block ×6, first 2 shown]
	v_fmac_f32_e32 v29, 0xbee1c552, v11
	v_fmac_f32_e32 v17, 0xbee1c552, v11
	;; [unrolled: 1-line block ×6, first 2 shown]
	v_sub_f32_e32 v7, v48, v29
	v_sub_f32_e32 v9, v27, v37
	;; [unrolled: 1-line block ×3, first 2 shown]
	v_add_f32_e32 v11, v17, v15
	v_add_f32_e32 v12, v28, v13
	v_sub_f32_e32 v13, v15, v17
	v_add_f32_e32 v15, v37, v27
	v_add_f32_e32 v17, v29, v48
	;; [unrolled: 1-line block ×6, first 2 shown]
	v_sub_f32_e32 v18, v18, v24
	v_add_f32_e32 v24, v19, v21
	v_sub_f32_e32 v19, v21, v19
	v_add_f32_e32 v21, v29, v27
	v_sub_f32_e32 v25, v38, v25
	v_sub_f32_e32 v26, v42, v26
	;; [unrolled: 1-line block ×3, first 2 shown]
	v_add_f32_e32 v38, v20, v22
	v_sub_f32_e32 v20, v22, v20
	v_add_f32_e32 v22, v37, v28
	v_add_f32_e32 v21, v24, v21
	v_add_f32_e32 v6, v44, v46
	v_add_f32_e32 v8, v45, v16
	v_sub_f32_e32 v14, v16, v45
	v_sub_f32_e32 v16, v46, v44
	v_add_f32_e32 v45, v20, v18
	v_sub_f32_e32 v46, v19, v23
	v_sub_f32_e32 v47, v20, v18
	;; [unrolled: 1-line block ×3, first 2 shown]
	v_add_f32_e32 v22, v38, v22
	v_add_f32_e32 v18, v21, v30
	v_sub_f32_e32 v42, v29, v27
	v_sub_f32_e32 v43, v37, v28
	;; [unrolled: 1-line block ×6, first 2 shown]
	v_add_f32_e32 v44, v19, v23
	v_sub_f32_e32 v48, v25, v19
	v_sub_f32_e32 v23, v23, v25
	v_add_f32_e32 v19, v22, v31
	v_mul_f32_e32 v31, 0x3f08b237, v46
	v_mov_b32_e32 v46, v18
	v_sub_f32_e32 v20, v26, v20
	v_add_f32_e32 v24, v44, v25
	v_add_f32_e32 v25, v45, v26
	v_mul_f32_e32 v26, 0x3f4a47b2, v27
	v_mul_f32_e32 v27, 0x3f4a47b2, v28
	;; [unrolled: 1-line block ×7, first 2 shown]
	v_fmac_f32_e32 v46, 0xbf955555, v21
	v_mov_b32_e32 v21, v19
	v_fmac_f32_e32 v21, 0xbf955555, v22
	v_fma_f32 v22, v42, s7, -v28
	v_fma_f32 v28, v43, s7, -v30
	v_fma_f32 v30, v42, s5, -v26
	v_fmac_f32_e32 v26, 0x3d64c772, v29
	v_fma_f32 v29, v43, s5, -v27
	v_fmac_f32_e32 v27, 0x3d64c772, v37
	v_fma_f32 v37, v23, s4, -v31
	;; [unrolled: 2-line block ×4, first 2 shown]
	v_fma_f32 v44, v20, s8, -v45
	v_add_f32_e32 v45, v26, v46
	v_add_f32_e32 v47, v27, v21
	;; [unrolled: 1-line block ×6, first 2 shown]
	v_fmac_f32_e32 v31, 0xbee1c552, v24
	v_fmac_f32_e32 v38, 0xbee1c552, v25
	;; [unrolled: 1-line block ×6, first 2 shown]
	v_add_f32_e32 v20, v38, v45
	v_sub_f32_e32 v21, v47, v31
	v_add_f32_e32 v22, v44, v28
	v_sub_f32_e32 v23, v29, v43
	v_sub_f32_e32 v24, v26, v42
	v_add_f32_e32 v25, v37, v27
	v_add_f32_e32 v26, v42, v26
	v_sub_f32_e32 v27, v27, v37
	v_sub_f32_e32 v28, v28, v44
	v_add_f32_e32 v29, v43, v29
	v_sub_f32_e32 v30, v45, v38
	v_add_f32_e32 v31, v31, v47
	ds_write2_b64 v39, v[4:5], v[18:19] offset1:119
	ds_write2_b64 v40, v[6:7], v[20:21] offset0:110 offset1:229
	ds_write2_b64 v2, v[8:9], v[22:23] offset0:92 offset1:211
	;; [unrolled: 1-line block ×6, first 2 shown]
	s_waitcnt lgkmcnt(0)
	s_barrier
	s_and_saveexec_b64 s[4:5], s[0:1]
	s_cbranch_execz .LBB0_23
; %bb.22:
	v_mul_lo_u32 v0, s3, v34
	v_mul_lo_u32 v1, s2, v35
	v_mad_u64_u32 v[4:5], s[0:1], s2, v34, 0
	v_mov_b32_e32 v7, s11
	v_lshl_add_u32 v6, v36, 3, 0
	v_add3_u32 v5, v5, v1, v0
	v_lshlrev_b64 v[4:5], 3, v[4:5]
	v_mov_b32_e32 v37, 0
	v_add_co_u32_e32 v8, vcc, s10, v4
	v_addc_co_u32_e32 v7, vcc, v7, v5, vcc
	v_lshlrev_b64 v[4:5], 3, v[32:33]
	ds_read2_b64 v[0:3], v6 offset1:119
	v_add_co_u32_e32 v8, vcc, v8, v4
	v_addc_co_u32_e32 v7, vcc, v7, v5, vcc
	v_lshlrev_b64 v[4:5], 3, v[36:37]
	v_add_co_u32_e32 v4, vcc, v8, v4
	v_addc_co_u32_e32 v5, vcc, v7, v5, vcc
	s_waitcnt lgkmcnt(0)
	global_store_dwordx2 v[4:5], v[0:1], off
	v_add_u32_e32 v0, 0x77, v36
	v_mov_b32_e32 v1, v37
	v_lshlrev_b64 v[0:1], 3, v[0:1]
	v_add_u32_e32 v4, 0xee, v36
	v_add_co_u32_e32 v0, vcc, v8, v0
	v_addc_co_u32_e32 v1, vcc, v7, v1, vcc
	global_store_dwordx2 v[0:1], v[2:3], off
	v_add_u32_e32 v0, 0x400, v6
	v_mov_b32_e32 v5, v37
	ds_read2_b64 v[0:3], v0 offset0:110 offset1:229
	v_lshlrev_b64 v[4:5], 3, v[4:5]
	v_add_co_u32_e32 v4, vcc, v8, v4
	v_addc_co_u32_e32 v5, vcc, v7, v5, vcc
	s_waitcnt lgkmcnt(0)
	global_store_dwordx2 v[4:5], v[0:1], off
	v_add_u32_e32 v0, 0x165, v36
	v_mov_b32_e32 v1, v37
	v_lshlrev_b64 v[0:1], 3, v[0:1]
	v_add_u32_e32 v4, 0x1dc, v36
	v_add_co_u32_e32 v0, vcc, v8, v0
	v_addc_co_u32_e32 v1, vcc, v7, v1, vcc
	global_store_dwordx2 v[0:1], v[2:3], off
	v_add_u32_e32 v0, 0xc00, v6
	v_mov_b32_e32 v5, v37
	ds_read2_b64 v[0:3], v0 offset0:92 offset1:211
	;; [unrolled: 15-line block ×6, first 2 shown]
	v_lshlrev_b64 v[4:5], 3, v[4:5]
	v_add_u32_e32 v36, 0x60b, v36
	v_add_co_u32_e32 v4, vcc, v8, v4
	v_addc_co_u32_e32 v5, vcc, v7, v5, vcc
	s_waitcnt lgkmcnt(0)
	global_store_dwordx2 v[4:5], v[0:1], off
	v_lshlrev_b64 v[0:1], 3, v[36:37]
	v_add_co_u32_e32 v0, vcc, v8, v0
	v_addc_co_u32_e32 v1, vcc, v7, v1, vcc
	global_store_dwordx2 v[0:1], v[2:3], off
.LBB0_23:
	s_endpgm
	.section	.rodata,"a",@progbits
	.p2align	6, 0x0
	.amdhsa_kernel fft_rtc_back_len1666_factors_17_2_7_7_wgs_119_tpt_119_halfLds_sp_op_CI_CI_unitstride_sbrr_C2R_dirReg
		.amdhsa_group_segment_fixed_size 0
		.amdhsa_private_segment_fixed_size 0
		.amdhsa_kernarg_size 104
		.amdhsa_user_sgpr_count 6
		.amdhsa_user_sgpr_private_segment_buffer 1
		.amdhsa_user_sgpr_dispatch_ptr 0
		.amdhsa_user_sgpr_queue_ptr 0
		.amdhsa_user_sgpr_kernarg_segment_ptr 1
		.amdhsa_user_sgpr_dispatch_id 0
		.amdhsa_user_sgpr_flat_scratch_init 0
		.amdhsa_user_sgpr_private_segment_size 0
		.amdhsa_uses_dynamic_stack 0
		.amdhsa_system_sgpr_private_segment_wavefront_offset 0
		.amdhsa_system_sgpr_workgroup_id_x 1
		.amdhsa_system_sgpr_workgroup_id_y 0
		.amdhsa_system_sgpr_workgroup_id_z 0
		.amdhsa_system_sgpr_workgroup_info 0
		.amdhsa_system_vgpr_workitem_id 0
		.amdhsa_next_free_vgpr 149
		.amdhsa_next_free_sgpr 28
		.amdhsa_reserve_vcc 1
		.amdhsa_reserve_flat_scratch 0
		.amdhsa_float_round_mode_32 0
		.amdhsa_float_round_mode_16_64 0
		.amdhsa_float_denorm_mode_32 3
		.amdhsa_float_denorm_mode_16_64 3
		.amdhsa_dx10_clamp 1
		.amdhsa_ieee_mode 1
		.amdhsa_fp16_overflow 0
		.amdhsa_exception_fp_ieee_invalid_op 0
		.amdhsa_exception_fp_denorm_src 0
		.amdhsa_exception_fp_ieee_div_zero 0
		.amdhsa_exception_fp_ieee_overflow 0
		.amdhsa_exception_fp_ieee_underflow 0
		.amdhsa_exception_fp_ieee_inexact 0
		.amdhsa_exception_int_div_zero 0
	.end_amdhsa_kernel
	.text
.Lfunc_end0:
	.size	fft_rtc_back_len1666_factors_17_2_7_7_wgs_119_tpt_119_halfLds_sp_op_CI_CI_unitstride_sbrr_C2R_dirReg, .Lfunc_end0-fft_rtc_back_len1666_factors_17_2_7_7_wgs_119_tpt_119_halfLds_sp_op_CI_CI_unitstride_sbrr_C2R_dirReg
                                        ; -- End function
	.section	.AMDGPU.csdata,"",@progbits
; Kernel info:
; codeLenInByte = 12148
; NumSgprs: 32
; NumVgprs: 149
; ScratchSize: 0
; MemoryBound: 0
; FloatMode: 240
; IeeeMode: 1
; LDSByteSize: 0 bytes/workgroup (compile time only)
; SGPRBlocks: 3
; VGPRBlocks: 37
; NumSGPRsForWavesPerEU: 32
; NumVGPRsForWavesPerEU: 149
; Occupancy: 1
; WaveLimiterHint : 1
; COMPUTE_PGM_RSRC2:SCRATCH_EN: 0
; COMPUTE_PGM_RSRC2:USER_SGPR: 6
; COMPUTE_PGM_RSRC2:TRAP_HANDLER: 0
; COMPUTE_PGM_RSRC2:TGID_X_EN: 1
; COMPUTE_PGM_RSRC2:TGID_Y_EN: 0
; COMPUTE_PGM_RSRC2:TGID_Z_EN: 0
; COMPUTE_PGM_RSRC2:TIDIG_COMP_CNT: 0
	.type	__hip_cuid_723b23daf5fecfc,@object ; @__hip_cuid_723b23daf5fecfc
	.section	.bss,"aw",@nobits
	.globl	__hip_cuid_723b23daf5fecfc
__hip_cuid_723b23daf5fecfc:
	.byte	0                               ; 0x0
	.size	__hip_cuid_723b23daf5fecfc, 1

	.ident	"AMD clang version 19.0.0git (https://github.com/RadeonOpenCompute/llvm-project roc-6.4.0 25133 c7fe45cf4b819c5991fe208aaa96edf142730f1d)"
	.section	".note.GNU-stack","",@progbits
	.addrsig
	.addrsig_sym __hip_cuid_723b23daf5fecfc
	.amdgpu_metadata
---
amdhsa.kernels:
  - .args:
      - .actual_access:  read_only
        .address_space:  global
        .offset:         0
        .size:           8
        .value_kind:     global_buffer
      - .offset:         8
        .size:           8
        .value_kind:     by_value
      - .actual_access:  read_only
        .address_space:  global
        .offset:         16
        .size:           8
        .value_kind:     global_buffer
      - .actual_access:  read_only
        .address_space:  global
        .offset:         24
        .size:           8
        .value_kind:     global_buffer
      - .actual_access:  read_only
        .address_space:  global
        .offset:         32
        .size:           8
        .value_kind:     global_buffer
      - .offset:         40
        .size:           8
        .value_kind:     by_value
      - .actual_access:  read_only
        .address_space:  global
        .offset:         48
        .size:           8
        .value_kind:     global_buffer
      - .actual_access:  read_only
        .address_space:  global
        .offset:         56
        .size:           8
        .value_kind:     global_buffer
      - .offset:         64
        .size:           4
        .value_kind:     by_value
      - .actual_access:  read_only
        .address_space:  global
        .offset:         72
        .size:           8
        .value_kind:     global_buffer
      - .actual_access:  read_only
        .address_space:  global
        .offset:         80
        .size:           8
        .value_kind:     global_buffer
      - .actual_access:  read_only
        .address_space:  global
        .offset:         88
        .size:           8
        .value_kind:     global_buffer
      - .actual_access:  write_only
        .address_space:  global
        .offset:         96
        .size:           8
        .value_kind:     global_buffer
    .group_segment_fixed_size: 0
    .kernarg_segment_align: 8
    .kernarg_segment_size: 104
    .language:       OpenCL C
    .language_version:
      - 2
      - 0
    .max_flat_workgroup_size: 119
    .name:           fft_rtc_back_len1666_factors_17_2_7_7_wgs_119_tpt_119_halfLds_sp_op_CI_CI_unitstride_sbrr_C2R_dirReg
    .private_segment_fixed_size: 0
    .sgpr_count:     32
    .sgpr_spill_count: 0
    .symbol:         fft_rtc_back_len1666_factors_17_2_7_7_wgs_119_tpt_119_halfLds_sp_op_CI_CI_unitstride_sbrr_C2R_dirReg.kd
    .uniform_work_group_size: 1
    .uses_dynamic_stack: false
    .vgpr_count:     149
    .vgpr_spill_count: 0
    .wavefront_size: 64
amdhsa.target:   amdgcn-amd-amdhsa--gfx906
amdhsa.version:
  - 1
  - 2
...

	.end_amdgpu_metadata
